;; amdgpu-corpus repo=ROCm/rocFFT kind=compiled arch=gfx906 opt=O3
	.text
	.amdgcn_target "amdgcn-amd-amdhsa--gfx906"
	.amdhsa_code_object_version 6
	.protected	bluestein_single_fwd_len900_dim1_dp_op_CI_CI ; -- Begin function bluestein_single_fwd_len900_dim1_dp_op_CI_CI
	.globl	bluestein_single_fwd_len900_dim1_dp_op_CI_CI
	.p2align	8
	.type	bluestein_single_fwd_len900_dim1_dp_op_CI_CI,@function
bluestein_single_fwd_len900_dim1_dp_op_CI_CI: ; @bluestein_single_fwd_len900_dim1_dp_op_CI_CI
; %bb.0:
	s_load_dwordx4 s[0:3], s[4:5], 0x28
	v_mul_u32_u24_e32 v1, 0x2d9, v0
	v_lshrrev_b32_e32 v40, 16, v1
	v_mov_b32_e32 v189, 0
	v_lshl_add_u32 v190, s6, 1, v40
	v_mov_b32_e32 v191, v189
	s_waitcnt lgkmcnt(0)
	v_cmp_gt_u64_e32 vcc, s[0:1], v[190:191]
	s_and_saveexec_b64 s[0:1], vcc
	s_cbranch_execz .LBB0_18
; %bb.1:
	s_load_dwordx4 s[8:11], s[4:5], 0x18
	s_load_dwordx4 s[12:15], s[4:5], 0x0
	v_mul_lo_u16_e32 v1, 0x5a, v40
	v_sub_u16_e32 v188, v0, v1
	v_lshlrev_b32_e32 v89, 4, v188
	s_waitcnt lgkmcnt(0)
	s_load_dwordx4 s[16:19], s[8:9], 0x0
	s_movk_i32 s6, 0x1000
	v_and_b32_e32 v40, 1, v40
	s_mov_b32 s21, 0xbfe2cf23
	s_mov_b32 s22, 0x9b97f4a8
	s_waitcnt lgkmcnt(0)
	v_mad_u64_u32 v[0:1], s[0:1], s18, v190, 0
	v_mad_u64_u32 v[2:3], s[0:1], s16, v188, 0
	s_mov_b32 s23, 0x3fe9e377
	v_mad_u64_u32 v[4:5], s[0:1], s19, v190, v[1:2]
	s_mov_b32 s19, 0xbfee6f0e
	v_mad_u64_u32 v[5:6], s[0:1], s17, v188, v[3:4]
	v_mov_b32_e32 v1, v4
	v_lshlrev_b64 v[0:1], 4, v[0:1]
	v_mov_b32_e32 v3, v5
	v_mov_b32_e32 v6, s3
	v_lshlrev_b64 v[2:3], 4, v[2:3]
	v_add_co_u32_e32 v0, vcc, s2, v0
	v_addc_co_u32_e32 v1, vcc, v6, v1, vcc
	v_add_co_u32_e32 v0, vcc, v0, v2
	v_mov_b32_e32 v2, s13
	v_add_co_u32_e64 v202, s[2:3], s12, v89
	s_mul_i32 s0, s17, 0x5a0
	s_mul_hi_u32 s1, s16, 0x5a0
	v_addc_co_u32_e32 v1, vcc, v1, v3, vcc
	v_addc_co_u32_e64 v81, vcc, 0, v2, s[2:3]
	s_add_i32 s0, s1, s0
	s_mul_i32 s1, s16, 0x5a0
	v_mov_b32_e32 v3, s0
	v_add_co_u32_e32 v2, vcc, s1, v0
	v_addc_co_u32_e32 v3, vcc, v1, v3, vcc
	global_load_dwordx4 v[41:44], v[0:1], off
	global_load_dwordx4 v[45:48], v[2:3], off
	global_load_dwordx4 v[36:39], v89, s[12:13]
	global_load_dwordx4 v[24:27], v89, s[12:13] offset:1440
	v_mov_b32_e32 v1, s0
	v_add_co_u32_e32 v0, vcc, s1, v2
	v_addc_co_u32_e32 v1, vcc, v3, v1, vcc
	v_mov_b32_e32 v3, s0
	v_add_co_u32_e32 v2, vcc, s1, v0
	v_addc_co_u32_e32 v3, vcc, v1, v3, vcc
	global_load_dwordx4 v[4:7], v89, s[12:13] offset:2880
	global_load_dwordx4 v[49:52], v[0:1], off
	global_load_dwordx4 v[53:56], v[2:3], off
	v_add_co_u32_e32 v0, vcc, s6, v202
	v_addc_co_u32_e32 v1, vcc, 0, v81, vcc
	v_mov_b32_e32 v8, s0
	v_add_co_u32_e32 v2, vcc, s1, v2
	v_addc_co_u32_e32 v3, vcc, v3, v8, vcc
	global_load_dwordx4 v[57:60], v[2:3], off
	global_load_dwordx4 v[32:35], v[0:1], off offset:224
	global_load_dwordx4 v[12:15], v[0:1], off offset:1664
	v_add_co_u32_e32 v2, vcc, s1, v2
	v_addc_co_u32_e32 v3, vcc, v3, v8, vcc
	global_load_dwordx4 v[61:64], v[2:3], off
	global_load_dwordx4 v[8:11], v[0:1], off offset:3104
	v_mov_b32_e32 v1, s0
	v_add_co_u32_e32 v0, vcc, s1, v2
	v_addc_co_u32_e32 v1, vcc, v3, v1, vcc
	s_movk_i32 s6, 0x2000
	v_add_co_u32_e32 v20, vcc, s6, v202
	v_addc_co_u32_e32 v21, vcc, 0, v81, vcc
	global_load_dwordx4 v[65:68], v[0:1], off
	v_mov_b32_e32 v2, s0
	v_add_co_u32_e32 v0, vcc, s1, v0
	v_addc_co_u32_e32 v1, vcc, v1, v2, vcc
	v_add_co_u32_e32 v22, vcc, s1, v0
	v_addc_co_u32_e32 v23, vcc, v1, v2, vcc
	global_load_dwordx4 v[69:72], v[0:1], off
	global_load_dwordx4 v[28:31], v[20:21], off offset:448
	global_load_dwordx4 v[16:19], v[20:21], off offset:1888
	global_load_dwordx4 v[73:76], v[22:23], off
	s_nop 0
	global_load_dwordx4 v[0:3], v[20:21], off offset:3328
	v_mov_b32_e32 v21, s0
	v_add_co_u32_e32 v20, vcc, s1, v22
	v_addc_co_u32_e32 v21, vcc, v23, v21, vcc
	s_movk_i32 s0, 0x3000
	global_load_dwordx4 v[77:80], v[20:21], off
	v_add_co_u32_e32 v20, vcc, s0, v202
	v_addc_co_u32_e32 v21, vcc, 0, v81, vcc
	global_load_dwordx4 v[20:23], v[20:21], off offset:672
	v_cmp_eq_u32_e32 vcc, 1, v40
	s_load_dwordx4 s[8:11], s[10:11], 0x0
	s_mov_b32 s0, 0x134454ff
	s_mov_b32 s1, 0x3fee6f0e
	;; [unrolled: 1-line block ×8, first 2 shown]
	s_movk_i32 s12, 0xcd
	s_waitcnt vmcnt(17)
	v_mul_f64 v[81:82], v[43:44], v[38:39]
	v_mul_f64 v[83:84], v[41:42], v[38:39]
	s_waitcnt vmcnt(16)
	v_mul_f64 v[85:86], v[47:48], v[26:27]
	v_mul_f64 v[87:88], v[45:46], v[26:27]
	v_fma_f64 v[41:42], v[41:42], v[36:37], v[81:82]
	v_fma_f64 v[43:44], v[43:44], v[36:37], -v[83:84]
	v_fma_f64 v[45:46], v[45:46], v[24:25], v[85:86]
	v_fma_f64 v[47:48], v[47:48], v[24:25], -v[87:88]
	v_mov_b32_e32 v81, 0x384
	v_cndmask_b32_e32 v40, 0, v81, vcc
	v_lshlrev_b32_e32 v203, 4, v40
	v_add_u32_e32 v197, v203, v89
	ds_write_b128 v197, v[41:44]
	ds_write_b128 v197, v[45:48] offset:1440
	s_waitcnt vmcnt(14)
	v_mul_f64 v[40:41], v[51:52], v[6:7]
	v_mul_f64 v[42:43], v[49:50], v[6:7]
	s_waitcnt vmcnt(11)
	v_mul_f64 v[46:47], v[53:54], v[34:35]
	s_waitcnt vmcnt(10)
	v_mul_f64 v[81:82], v[59:60], v[14:15]
	v_mul_f64 v[83:84], v[57:58], v[14:15]
	;; [unrolled: 1-line block ×3, first 2 shown]
	v_fma_f64 v[40:41], v[49:50], v[4:5], v[40:41]
	s_waitcnt vmcnt(8)
	v_mul_f64 v[85:86], v[63:64], v[10:11]
	v_mul_f64 v[87:88], v[61:62], v[10:11]
	v_fma_f64 v[42:43], v[51:52], v[4:5], -v[42:43]
	v_fma_f64 v[46:47], v[55:56], v[32:33], -v[46:47]
	v_fma_f64 v[48:49], v[57:58], v[12:13], v[81:82]
	v_fma_f64 v[50:51], v[59:60], v[12:13], -v[83:84]
	v_fma_f64 v[44:45], v[53:54], v[32:33], v[44:45]
	v_fma_f64 v[52:53], v[61:62], v[8:9], v[85:86]
	v_fma_f64 v[54:55], v[63:64], v[8:9], -v[87:88]
	s_waitcnt vmcnt(5)
	v_mul_f64 v[56:57], v[67:68], v[30:31]
	v_mul_f64 v[58:59], v[65:66], v[30:31]
	s_waitcnt vmcnt(4)
	v_mul_f64 v[60:61], v[71:72], v[18:19]
	v_mul_f64 v[62:63], v[69:70], v[18:19]
	;; [unrolled: 3-line block ×3, first 2 shown]
	v_fma_f64 v[56:57], v[65:66], v[28:29], v[56:57]
	v_fma_f64 v[58:59], v[67:68], v[28:29], -v[58:59]
	v_fma_f64 v[60:61], v[69:70], v[16:17], v[60:61]
	v_fma_f64 v[62:63], v[71:72], v[16:17], -v[62:63]
	v_fma_f64 v[64:65], v[73:74], v[0:1], v[81:82]
	v_fma_f64 v[66:67], v[75:76], v[0:1], -v[83:84]
	s_waitcnt vmcnt(0)
	v_mul_f64 v[85:86], v[79:80], v[22:23]
	v_mul_f64 v[87:88], v[77:78], v[22:23]
	v_fma_f64 v[68:69], v[77:78], v[20:21], v[85:86]
	v_fma_f64 v[70:71], v[79:80], v[20:21], -v[87:88]
	ds_write_b128 v197, v[40:43] offset:2880
	ds_write_b128 v197, v[44:47] offset:4320
	;; [unrolled: 1-line block ×8, first 2 shown]
	s_waitcnt lgkmcnt(0)
	s_barrier
	ds_read_b128 v[40:43], v197 offset:2880
	ds_read_b128 v[44:47], v197
	ds_read_b128 v[48:51], v197 offset:5760
	ds_read_b128 v[52:55], v197 offset:8640
	;; [unrolled: 1-line block ×4, first 2 shown]
	s_waitcnt lgkmcnt(4)
	v_add_f64 v[76:77], v[44:45], v[40:41]
	ds_read_b128 v[64:67], v197 offset:7200
	ds_read_b128 v[68:71], v197 offset:10080
	s_waitcnt lgkmcnt(4)
	v_add_f64 v[78:79], v[48:49], v[52:53]
	ds_read_b128 v[72:75], v197 offset:11520
	v_add_f64 v[88:89], v[50:51], -v[54:55]
	v_add_f64 v[90:91], v[40:41], -v[48:49]
	v_add_f64 v[96:97], v[46:47], v[42:43]
	s_waitcnt lgkmcnt(2)
	v_add_f64 v[100:101], v[60:61], -v[64:65]
	v_add_f64 v[80:81], v[76:77], v[48:49]
	v_fma_f64 v[82:83], v[78:79], -0.5, v[44:45]
	ds_read_b128 v[76:79], v197 offset:12960
	s_waitcnt lgkmcnt(1)
	v_add_f64 v[94:95], v[40:41], v[72:73]
	v_add_f64 v[84:85], v[42:43], -v[74:75]
	v_add_f64 v[92:93], v[72:73], -v[52:53]
	;; [unrolled: 1-line block ×3, first 2 shown]
	v_add_f64 v[80:81], v[80:81], v[52:53]
	v_add_f64 v[40:41], v[48:49], -v[40:41]
	v_add_f64 v[48:49], v[48:49], -v[52:53]
	s_waitcnt lgkmcnt(0)
	v_add_f64 v[102:103], v[76:77], -v[68:69]
	v_fma_f64 v[44:45], v[94:95], -0.5, v[44:45]
	v_fma_f64 v[86:87], v[84:85], s[0:1], v[82:83]
	v_add_f64 v[90:91], v[90:91], v[92:93]
	v_add_f64 v[92:93], v[50:51], v[54:55]
	;; [unrolled: 1-line block ×3, first 2 shown]
	v_fma_f64 v[82:83], v[84:85], s[18:19], v[82:83]
	v_add_f64 v[72:73], v[52:53], -v[72:73]
	v_add_f64 v[52:53], v[42:43], -v[50:51]
	v_fma_f64 v[94:95], v[88:89], s[18:19], v[44:45]
	v_fma_f64 v[44:45], v[88:89], s[0:1], v[44:45]
	;; [unrolled: 1-line block ×3, first 2 shown]
	v_fma_f64 v[92:93], v[92:93], -0.5, v[46:47]
	v_fma_f64 v[82:83], v[88:89], s[20:21], v[82:83]
	v_add_f64 v[40:41], v[40:41], v[72:73]
	v_add_f64 v[72:73], v[74:75], -v[54:55]
	v_fma_f64 v[88:89], v[84:85], s[6:7], v[94:95]
	v_fma_f64 v[44:45], v[84:85], s[20:21], v[44:45]
	v_add_f64 v[84:85], v[42:43], v[74:75]
	v_add_f64 v[94:95], v[96:97], v[50:51]
	v_fma_f64 v[96:97], v[98:99], s[18:19], v[92:93]
	v_fma_f64 v[86:87], v[90:91], s[16:17], v[86:87]
	;; [unrolled: 1-line block ×3, first 2 shown]
	v_add_f64 v[90:91], v[64:65], v[68:69]
	v_add_f64 v[52:53], v[52:53], v[72:73]
	v_fma_f64 v[72:73], v[40:41], s[16:17], v[88:89]
	v_fma_f64 v[46:47], v[84:85], -0.5, v[46:47]
	v_fma_f64 v[84:85], v[40:41], s[16:17], v[44:45]
	v_add_f64 v[40:41], v[56:57], v[60:61]
	v_add_f64 v[94:95], v[94:95], v[54:55]
	v_fma_f64 v[96:97], v[48:49], s[20:21], v[96:97]
	v_fma_f64 v[44:45], v[90:91], -0.5, v[56:57]
	v_add_f64 v[90:91], v[62:63], -v[78:79]
	v_fma_f64 v[92:93], v[98:99], s[0:1], v[92:93]
	v_add_f64 v[42:43], v[50:51], -v[42:43]
	v_add_f64 v[50:51], v[54:55], -v[74:75]
	v_add_f64 v[40:41], v[40:41], v[64:65]
	v_add_f64 v[88:89], v[94:95], v[74:75]
	v_fma_f64 v[94:95], v[52:53], s[16:17], v[96:97]
	v_fma_f64 v[96:97], v[48:49], s[0:1], v[46:47]
	;; [unrolled: 1-line block ×4, first 2 shown]
	v_add_f64 v[74:75], v[66:67], -v[70:71]
	v_fma_f64 v[48:49], v[48:49], s[6:7], v[92:93]
	v_add_f64 v[40:41], v[40:41], v[68:69]
	v_add_f64 v[92:93], v[60:61], v[76:77]
	v_add_f64 v[42:43], v[42:43], v[50:51]
	v_fma_f64 v[96:97], v[98:99], s[20:21], v[96:97]
	v_fma_f64 v[46:47], v[98:99], s[6:7], v[46:47]
	;; [unrolled: 1-line block ×4, first 2 shown]
	v_add_f64 v[54:55], v[100:101], v[102:103]
	v_fma_f64 v[98:99], v[52:53], s[16:17], v[48:49]
	v_add_f64 v[52:53], v[66:67], v[70:71]
	v_add_f64 v[100:101], v[40:41], v[76:77]
	v_add_f64 v[40:41], v[62:63], v[78:79]
	v_fma_f64 v[48:49], v[92:93], -0.5, v[56:57]
	v_fma_f64 v[92:93], v[42:43], s[16:17], v[96:97]
	v_fma_f64 v[96:97], v[42:43], s[16:17], v[46:47]
	;; [unrolled: 1-line block ×3, first 2 shown]
	v_add_f64 v[56:57], v[64:65], -v[60:61]
	v_fma_f64 v[50:51], v[52:53], -0.5, v[58:59]
	v_add_f64 v[52:53], v[60:61], -v[76:77]
	v_add_f64 v[60:61], v[68:69], -v[76:77]
	;; [unrolled: 1-line block ×3, first 2 shown]
	v_fma_f64 v[40:41], v[40:41], -0.5, v[58:59]
	v_fma_f64 v[46:47], v[74:75], s[18:19], v[48:49]
	v_fma_f64 v[48:49], v[74:75], s[0:1], v[48:49]
	v_add_f64 v[58:59], v[58:59], v[62:63]
	v_fma_f64 v[44:45], v[74:75], s[20:21], v[44:45]
	v_fma_f64 v[68:69], v[52:53], s[18:19], v[50:51]
	v_add_f64 v[74:75], v[62:63], -v[66:67]
	v_add_f64 v[76:77], v[78:79], -v[70:71]
	v_add_f64 v[56:57], v[56:57], v[60:61]
	v_fma_f64 v[60:61], v[64:65], s[0:1], v[40:41]
	v_add_f64 v[62:63], v[66:67], -v[62:63]
	v_add_f64 v[102:103], v[70:71], -v[78:79]
	v_fma_f64 v[46:47], v[90:91], s[6:7], v[46:47]
	v_fma_f64 v[48:49], v[90:91], s[20:21], v[48:49]
	v_add_f64 v[58:59], v[58:59], v[66:67]
	v_fma_f64 v[50:51], v[52:53], s[0:1], v[50:51]
	v_fma_f64 v[40:41], v[64:65], s[18:19], v[40:41]
	;; [unrolled: 1-line block ×3, first 2 shown]
	v_add_f64 v[68:69], v[74:75], v[76:77]
	v_fma_f64 v[60:61], v[52:53], s[20:21], v[60:61]
	v_add_f64 v[62:63], v[62:63], v[102:103]
	v_fma_f64 v[54:55], v[54:55], s[16:17], v[44:45]
	v_fma_f64 v[44:45], v[56:57], s[16:17], v[46:47]
	;; [unrolled: 1-line block ×3, first 2 shown]
	v_add_f64 v[48:49], v[58:59], v[70:71]
	v_fma_f64 v[50:51], v[64:65], s[6:7], v[50:51]
	v_fma_f64 v[40:41], v[52:53], s[6:7], v[40:41]
	;; [unrolled: 1-line block ×4, first 2 shown]
	v_mul_f64 v[58:59], v[42:43], s[22:23]
	v_mul_f64 v[42:43], v[42:43], s[20:21]
	;; [unrolled: 1-line block ×3, first 2 shown]
	v_add_f64 v[66:67], v[48:49], v[78:79]
	v_fma_f64 v[48:49], v[68:69], s[16:17], v[50:51]
	v_fma_f64 v[50:51], v[62:63], s[16:17], v[40:41]
	v_mul_f64 v[62:63], v[46:47], s[16:17]
	v_mul_f64 v[60:61], v[56:57], s[0:1]
	v_fma_f64 v[68:69], v[52:53], s[6:7], v[58:59]
	v_mul_f64 v[58:59], v[44:45], s[18:19]
	v_fma_f64 v[90:91], v[52:53], s[22:23], v[42:43]
	v_add_f64 v[40:41], v[80:81], v[100:101]
	v_mul_f64 v[74:75], v[48:49], s[22:23]
	v_mul_f64 v[70:71], v[50:51], s[16:17]
	v_fma_f64 v[62:63], v[50:51], s[0:1], -v[62:63]
	v_fma_f64 v[76:77], v[44:45], s[16:17], v[60:61]
	v_fma_f64 v[78:79], v[48:49], s[6:7], -v[64:65]
	v_fma_f64 v[102:103], v[56:57], s[16:17], v[58:59]
	v_add_f64 v[42:43], v[88:89], v[66:67]
	v_add_f64 v[44:45], v[86:87], v[68:69]
	v_fma_f64 v[106:107], v[54:55], s[20:21], -v[74:75]
	v_fma_f64 v[104:105], v[46:47], s[18:19], -v[70:71]
	v_add_f64 v[46:47], v[94:95], v[90:91]
	v_add_f64 v[48:49], v[72:73], v[76:77]
	;; [unrolled: 1-line block ×5, first 2 shown]
	v_add_f64 v[60:61], v[80:81], -v[100:101]
	v_add_f64 v[58:59], v[98:99], v[106:107]
	v_add_f64 v[54:55], v[96:97], v[104:105]
	v_add_f64 v[64:65], v[86:87], -v[68:69]
	v_add_f64 v[68:69], v[72:73], -v[76:77]
	;; [unrolled: 1-line block ×5, first 2 shown]
	v_mul_lo_u16_e32 v80, 10, v188
	v_add_f64 v[70:71], v[92:93], -v[102:103]
	v_lshl_add_u32 v201, v80, 4, v203
	v_add_f64 v[76:77], v[82:83], -v[78:79]
	v_add_f64 v[74:75], v[96:97], -v[104:105]
	;; [unrolled: 1-line block ×3, first 2 shown]
	s_barrier
	ds_write_b128 v201, v[40:43]
	ds_write_b128 v201, v[44:47] offset:16
	ds_write_b128 v201, v[48:51] offset:32
	;; [unrolled: 1-line block ×9, first 2 shown]
	v_mul_lo_u16_sdwa v40, v188, s12 dst_sel:DWORD dst_unused:UNUSED_PAD src0_sel:BYTE_0 src1_sel:DWORD
	v_lshrrev_b16_e32 v40, 11, v40
	v_mul_lo_u16_e32 v41, 10, v40
	v_sub_u16_e32 v41, v188, v41
	v_mov_b32_e32 v43, s15
	v_and_b32_e32 v41, 0xff, v41
	s_movk_i32 s12, 0x90
	v_mov_b32_e32 v42, s14
	v_mad_u64_u32 v[42:43], s[24:25], v41, s12, v[42:43]
	s_waitcnt lgkmcnt(0)
	s_barrier
	global_load_dwordx4 v[128:131], v[42:43], off
	global_load_dwordx4 v[124:127], v[42:43], off offset:16
	global_load_dwordx4 v[120:123], v[42:43], off offset:32
	;; [unrolled: 1-line block ×8, first 2 shown]
	ds_read_b128 v[42:45], v197 offset:1440
	ds_read_b128 v[46:49], v197 offset:2880
	;; [unrolled: 1-line block ×3, first 2 shown]
	ds_read_b128 v[54:57], v197
	ds_read_b128 v[58:61], v197 offset:5760
	ds_read_b128 v[62:65], v197 offset:7200
	v_mul_u32_u24_e32 v40, 0x64, v40
	v_add_u32_e32 v40, v40, v41
	v_lshl_add_u32 v198, v40, 4, v203
	s_waitcnt vmcnt(8) lgkmcnt(5)
	v_mul_f64 v[66:67], v[44:45], v[130:131]
	s_waitcnt vmcnt(7) lgkmcnt(4)
	v_mul_f64 v[70:71], v[48:49], v[126:127]
	v_mul_f64 v[68:69], v[42:43], v[130:131]
	;; [unrolled: 1-line block ×3, first 2 shown]
	s_waitcnt vmcnt(6) lgkmcnt(3)
	v_mul_f64 v[74:75], v[52:53], v[122:123]
	v_mul_f64 v[76:77], v[50:51], v[122:123]
	s_waitcnt vmcnt(5) lgkmcnt(1)
	v_mul_f64 v[78:79], v[58:59], v[114:115]
	s_waitcnt vmcnt(4) lgkmcnt(0)
	v_mul_f64 v[80:81], v[64:65], v[138:139]
	v_fma_f64 v[66:67], v[42:43], v[128:129], -v[66:67]
	v_fma_f64 v[70:71], v[46:47], v[124:125], -v[70:71]
	v_mul_f64 v[46:47], v[60:61], v[114:115]
	v_fma_f64 v[68:69], v[44:45], v[128:129], v[68:69]
	ds_read_b128 v[42:45], v197 offset:8640
	v_fma_f64 v[72:73], v[48:49], v[124:125], v[72:73]
	v_fma_f64 v[74:75], v[50:51], v[120:121], -v[74:75]
	v_fma_f64 v[76:77], v[52:53], v[120:121], v[76:77]
	v_mul_f64 v[82:83], v[62:63], v[138:139]
	s_waitcnt vmcnt(3) lgkmcnt(0)
	v_mul_f64 v[86:87], v[44:45], v[118:119]
	v_fma_f64 v[84:85], v[58:59], v[112:113], -v[46:47]
	ds_read_b128 v[46:49], v197 offset:11520
	ds_read_b128 v[50:53], v197 offset:10080
	v_mul_f64 v[88:89], v[42:43], v[118:119]
	v_fma_f64 v[78:79], v[60:61], v[112:113], v[78:79]
	ds_read_b128 v[58:61], v197 offset:12960
	s_waitcnt vmcnt(2) lgkmcnt(2)
	v_mul_f64 v[90:91], v[48:49], v[106:107]
	s_waitcnt vmcnt(1) lgkmcnt(1)
	v_mul_f64 v[92:93], v[52:53], v[110:111]
	v_mul_f64 v[94:95], v[50:51], v[110:111]
	;; [unrolled: 1-line block ×3, first 2 shown]
	v_fma_f64 v[62:63], v[62:63], v[136:137], -v[80:81]
	v_fma_f64 v[80:81], v[42:43], v[116:117], -v[86:87]
	v_fma_f64 v[64:65], v[64:65], v[136:137], v[82:83]
	v_fma_f64 v[82:83], v[44:45], v[116:117], v[88:89]
	v_fma_f64 v[86:87], v[46:47], v[104:105], -v[90:91]
	s_waitcnt vmcnt(0) lgkmcnt(0)
	v_mul_f64 v[44:45], v[60:61], v[134:135]
	v_mul_f64 v[46:47], v[58:59], v[134:135]
	v_fma_f64 v[50:51], v[50:51], v[108:109], -v[92:93]
	v_fma_f64 v[52:53], v[52:53], v[108:109], v[94:95]
	v_fma_f64 v[88:89], v[48:49], v[104:105], v[96:97]
	v_add_f64 v[42:43], v[54:55], v[70:71]
	v_add_f64 v[48:49], v[84:85], v[80:81]
	;; [unrolled: 1-line block ×6, first 2 shown]
	v_fma_f64 v[58:59], v[58:59], v[132:133], -v[44:45]
	v_fma_f64 v[60:61], v[60:61], v[132:133], v[46:47]
	v_add_f64 v[42:43], v[42:43], v[84:85]
	v_fma_f64 v[98:99], v[48:49], -0.5, v[54:55]
	v_fma_f64 v[90:91], v[90:91], -0.5, v[54:55]
	v_add_f64 v[44:45], v[92:93], v[78:79]
	v_add_f64 v[48:49], v[96:97], v[64:65]
	;; [unrolled: 1-line block ×10, first 2 shown]
	v_fma_f64 v[54:55], v[54:55], -0.5, v[68:69]
	v_add_f64 v[102:103], v[74:75], -v[58:59]
	v_add_f64 v[46:47], v[46:47], v[50:51]
	v_fma_f64 v[94:95], v[94:95], -0.5, v[66:67]
	v_add_f64 v[140:141], v[76:77], -v[60:61]
	v_add_f64 v[150:151], v[62:63], -v[50:51]
	;; [unrolled: 1-line block ×3, first 2 shown]
	v_fma_f64 v[68:69], v[162:163], -0.5, v[68:69]
	v_fma_f64 v[66:67], v[164:165], -0.5, v[66:67]
	v_add_f64 v[92:93], v[78:79], v[82:83]
	v_add_f64 v[96:97], v[72:73], v[88:89]
	;; [unrolled: 1-line block ×4, first 2 shown]
	v_add_f64 v[42:43], v[74:75], -v[62:63]
	v_add_f64 v[44:45], v[58:59], -v[50:51]
	;; [unrolled: 1-line block ×4, first 2 shown]
	v_fma_f64 v[148:149], v[102:103], s[18:19], v[54:55]
	v_add_f64 v[48:49], v[48:49], v[60:61]
	v_add_f64 v[158:159], v[72:73], -v[78:79]
	v_add_f64 v[160:161], v[88:89], -v[82:83]
	v_fma_f64 v[152:153], v[140:141], s[0:1], v[94:95]
	v_add_f64 v[46:47], v[46:47], v[58:59]
	v_add_f64 v[62:63], v[62:63], -v[74:75]
	v_add_f64 v[50:51], v[50:51], -v[58:59]
	v_add_f64 v[58:59], v[64:65], -v[76:77]
	v_add_f64 v[52:53], v[52:53], -v[60:61]
	v_fma_f64 v[60:61], v[150:151], s[0:1], v[68:69]
	v_fma_f64 v[64:65], v[154:155], s[18:19], v[66:67]
	v_fma_f64 v[92:93], v[92:93], -0.5, v[56:57]
	v_fma_f64 v[96:97], v[96:97], -0.5, v[56:57]
	v_add_f64 v[156:157], v[42:43], v[44:45]
	v_add_f64 v[144:145], v[144:145], v[146:147]
	v_fma_f64 v[56:57], v[150:151], s[20:21], v[148:149]
	v_add_f64 v[44:45], v[142:143], v[48:49]
	v_add_f64 v[48:49], v[142:143], -v[48:49]
	v_add_f64 v[142:143], v[158:159], v[160:161]
	v_add_f64 v[158:159], v[72:73], -v[88:89]
	v_fma_f64 v[146:147], v[154:155], s[6:7], v[152:153]
	v_add_f64 v[160:161], v[70:71], -v[86:87]
	v_add_f64 v[62:63], v[62:63], v[50:51]
	v_add_f64 v[58:59], v[58:59], v[52:53]
	v_fma_f64 v[50:51], v[102:103], s[20:21], v[60:61]
	v_fma_f64 v[52:53], v[140:141], s[6:7], v[64:65]
	v_add_f64 v[148:149], v[70:71], -v[84:85]
	v_add_f64 v[152:153], v[86:87], -v[80:81]
	v_fma_f64 v[56:57], v[144:145], s[16:17], v[56:57]
	v_fma_f64 v[74:75], v[158:159], s[0:1], v[98:99]
	v_add_f64 v[76:77], v[78:79], -v[82:83]
	v_fma_f64 v[146:147], v[156:157], s[16:17], v[146:147]
	v_fma_f64 v[162:163], v[160:161], s[18:19], v[92:93]
	v_add_f64 v[164:165], v[84:85], -v[80:81]
	v_add_f64 v[70:71], v[84:85], -v[70:71]
	;; [unrolled: 1-line block ×3, first 2 shown]
	v_fma_f64 v[84:85], v[58:59], s[16:17], v[50:51]
	v_fma_f64 v[86:87], v[62:63], s[16:17], v[52:53]
	v_add_f64 v[42:43], v[100:101], v[46:47]
	v_add_f64 v[46:47], v[100:101], -v[46:47]
	v_add_f64 v[100:101], v[148:149], v[152:153]
	v_mul_f64 v[148:149], v[56:57], s[6:7]
	v_fma_f64 v[64:65], v[76:77], s[6:7], v[74:75]
	v_mul_f64 v[152:153], v[146:147], s[20:21]
	v_fma_f64 v[74:75], v[164:165], s[20:21], v[162:163]
	v_add_f64 v[52:53], v[82:83], -v[88:89]
	v_mul_f64 v[82:83], v[84:85], s[0:1]
	v_mul_f64 v[88:89], v[86:87], s[18:19]
	v_add_f64 v[50:51], v[78:79], -v[72:73]
	v_fma_f64 v[60:61], v[146:147], s[22:23], v[148:149]
	v_fma_f64 v[64:65], v[100:101], s[16:17], v[64:65]
	;; [unrolled: 1-line block ×10, first 2 shown]
	v_add_f64 v[70:71], v[70:71], v[80:81]
	v_add_f64 v[80:81], v[50:51], v[52:53]
	;; [unrolled: 1-line block ×3, first 2 shown]
	v_add_f64 v[54:55], v[64:65], -v[60:61]
	v_fma_f64 v[60:61], v[140:141], s[20:21], v[66:67]
	v_fma_f64 v[68:69], v[102:103], s[6:7], v[68:69]
	v_add_f64 v[52:53], v[74:75], v[56:57]
	v_add_f64 v[56:57], v[74:75], -v[56:57]
	v_fma_f64 v[74:75], v[154:155], s[20:21], v[86:87]
	v_fma_f64 v[86:87], v[150:151], s[6:7], v[88:89]
	;; [unrolled: 1-line block ×16, first 2 shown]
	v_mul_f64 v[92:93], v[60:61], s[16:17]
	v_mul_f64 v[94:95], v[58:59], s[16:17]
	v_fma_f64 v[62:63], v[76:77], s[20:21], v[62:63]
	v_fma_f64 v[68:69], v[164:165], s[6:7], v[68:69]
	v_mul_f64 v[76:77], v[74:75], s[22:23]
	v_mul_f64 v[96:97], v[86:87], s[22:23]
	v_fma_f64 v[72:73], v[70:71], s[16:17], v[72:73]
	v_fma_f64 v[78:79], v[80:81], s[16:17], v[78:79]
	;; [unrolled: 1-line block ×4, first 2 shown]
	v_fma_f64 v[58:59], v[58:59], s[0:1], -v[92:93]
	v_fma_f64 v[60:61], v[60:61], s[18:19], -v[94:95]
	v_fma_f64 v[62:63], v[100:101], s[16:17], v[62:63]
	v_fma_f64 v[90:91], v[142:143], s[16:17], v[68:69]
	v_fma_f64 v[86:87], v[86:87], s[6:7], -v[76:77]
	v_fma_f64 v[92:93], v[74:75], s[20:21], -v[96:97]
	v_add_f64 v[64:65], v[72:73], v[82:83]
	v_add_f64 v[66:67], v[78:79], v[84:85]
	v_add_f64 v[68:69], v[72:73], -v[82:83]
	v_add_f64 v[72:73], v[88:89], v[58:59]
	v_add_f64 v[74:75], v[80:81], v[60:61]
	v_add_f64 v[70:71], v[78:79], -v[84:85]
	v_add_f64 v[78:79], v[80:81], -v[60:61]
	v_add_f64 v[80:81], v[62:63], v[86:87]
	v_add_f64 v[82:83], v[90:91], v[92:93]
	v_add_f64 v[76:77], v[88:89], -v[58:59]
	v_add_f64 v[60:61], v[62:63], -v[86:87]
	;; [unrolled: 1-line block ×3, first 2 shown]
	s_barrier
	ds_write_b128 v198, v[42:45]
	ds_write_b128 v198, v[50:53] offset:160
	ds_write_b128 v198, v[64:67] offset:320
	;; [unrolled: 1-line block ×9, first 2 shown]
	s_waitcnt lgkmcnt(0)
	s_barrier
	ds_read_b128 v[84:87], v197
	ds_read_b128 v[80:83], v197 offset:1440
	ds_read_b128 v[92:95], v197 offset:9600
	;; [unrolled: 1-line block ×8, first 2 shown]
	s_load_dwordx2 s[16:17], s[4:5], 0x38
	v_cmp_gt_u16_e64 s[0:1], 30, v188
                                        ; implicit-def: $vgpr148_vgpr149
                                        ; implicit-def: $vgpr152_vgpr153
	s_and_saveexec_b64 s[4:5], s[0:1]
	s_cbranch_execz .LBB0_3
; %bb.2:
	ds_read_b128 v[60:63], v197 offset:4320
	ds_read_b128 v[148:151], v197 offset:9120
	;; [unrolled: 1-line block ×3, first 2 shown]
.LBB0_3:
	s_or_b64 exec, exec, s[4:5]
	v_lshlrev_b64 v[40:41], 5, v[188:189]
	v_mov_b32_e32 v73, s15
	v_add_co_u32_e64 v195, s[6:7], s14, v40
	v_addc_co_u32_e64 v196, s[6:7], v73, v41, s[6:7]
	v_add_co_u32_e32 v193, vcc, 0x5a, v188
	v_add_co_u32_e64 v48, s[6:7], -10, v188
	v_addc_co_u32_e64 v194, s[4:5], 0, 0, vcc
	v_add_co_u32_e32 v191, vcc, 0xb4, v188
	global_load_dwordx4 v[40:43], v[195:196], off offset:1456
	global_load_dwordx4 v[44:47], v[195:196], off offset:1440
	v_addc_co_u32_e64 v49, s[6:7], 0, -1, s[6:7]
	v_cmp_gt_u16_e64 s[6:7], 10, v188
	v_lshrrev_b16_e32 v56, 2, v191
	v_cndmask_b32_e64 v161, v49, v194, s[6:7]
	v_cndmask_b32_e64 v160, v48, v193, s[6:7]
	v_mul_u32_u24_e32 v56, 0x147b, v56
	v_lshlrev_b64 v[48:49], 5, v[160:161]
	v_lshrrev_b32_e32 v187, 17, v56
	v_mul_lo_u16_e32 v56, 0x64, v187
	v_add_co_u32_e64 v52, s[6:7], s14, v48
	v_sub_u16_e32 v189, v191, v56
	v_addc_co_u32_e64 v53, s[6:7], v73, v49, s[6:7]
	v_lshlrev_b16_e32 v56, 5, v189
	v_add_co_u32_e64 v64, s[6:7], s14, v56
	global_load_dwordx4 v[48:51], v[52:53], off offset:1456
	s_nop 0
	global_load_dwordx4 v[52:55], v[52:53], off offset:1440
	v_addc_co_u32_e64 v65, s[6:7], 0, v73, s[6:7]
	global_load_dwordx4 v[56:59], v[64:65], off offset:1456
	s_nop 0
	global_load_dwordx4 v[64:67], v[64:65], off offset:1440
	s_mov_b64 s[4:5], vcc
	v_add_co_u32_e32 v204, vcc, 0x10e, v188
	v_lshrrev_b16_e32 v72, 2, v204
	v_mul_u32_u24_e32 v72, 0x147b, v72
	v_lshrrev_b32_e32 v72, 17, v72
	v_mul_lo_u16_e32 v72, 0x64, v72
	v_sub_u16_e32 v206, v204, v72
	v_lshlrev_b16_e32 v72, 5, v206
	v_add_co_u32_e64 v72, s[6:7], s14, v72
	v_addc_co_u32_e64 v73, s[6:7], 0, v73, s[6:7]
	global_load_dwordx4 v[76:79], v[72:73], off offset:1440
	s_nop 0
	global_load_dwordx4 v[72:75], v[72:73], off offset:1456
	s_mov_b32 s6, 0xe8584caa
	s_mov_b32 s7, 0x3febb67a
	;; [unrolled: 1-line block ×4, first 2 shown]
	v_addc_co_u32_e64 v192, s[4:5], 0, 0, s[4:5]
	v_addc_co_u32_e64 v205, s[4:5], 0, 0, vcc
	v_cmp_lt_u16_e32 vcc, 9, v188
	s_movk_i32 s4, 0x12c
	s_waitcnt vmcnt(0) lgkmcnt(0)
	s_barrier
	v_mul_f64 v[161:162], v[94:95], v[42:43]
	v_mul_f64 v[156:157], v[146:147], v[46:47]
	;; [unrolled: 1-line block ×4, first 2 shown]
	v_fma_f64 v[92:93], v[92:93], v[40:41], -v[161:162]
	v_fma_f64 v[144:145], v[144:145], v[44:45], -v[156:157]
	v_fma_f64 v[146:147], v[146:147], v[44:45], v[158:159]
	v_fma_f64 v[94:95], v[94:95], v[40:41], v[163:164]
	v_mul_f64 v[169:170], v[90:91], v[50:51]
	v_mul_f64 v[165:166], v[102:103], v[54:55]
	;; [unrolled: 1-line block ×8, first 2 shown]
	v_fma_f64 v[156:157], v[88:89], v[48:49], -v[169:170]
	v_fma_f64 v[100:101], v[100:101], v[52:53], -v[165:166]
	v_fma_f64 v[102:103], v[102:103], v[52:53], v[167:168]
	v_fma_f64 v[158:159], v[90:91], v[48:49], v[171:172]
	v_fma_f64 v[163:164], v[96:97], v[56:57], -v[177:178]
	v_add_f64 v[88:89], v[144:145], v[92:93]
	v_add_f64 v[96:97], v[146:147], v[94:95]
	v_fma_f64 v[161:162], v[140:141], v[64:65], -v[173:174]
	v_fma_f64 v[165:166], v[98:99], v[56:57], v[179:180]
	v_mul_f64 v[181:182], v[150:151], v[78:79]
	v_mul_f64 v[183:184], v[148:149], v[78:79]
	;; [unrolled: 1-line block ×4, first 2 shown]
	v_add_f64 v[90:91], v[84:85], v[144:145]
	v_add_f64 v[98:99], v[146:147], -v[94:95]
	v_add_f64 v[140:141], v[86:87], v[146:147]
	v_add_f64 v[144:145], v[144:145], -v[92:93]
	v_add_f64 v[146:147], v[80:81], v[100:101]
	v_add_f64 v[167:168], v[100:101], v[156:157]
	v_fma_f64 v[169:170], v[88:89], -0.5, v[84:85]
	v_fma_f64 v[96:97], v[96:97], -0.5, v[86:87]
	v_add_f64 v[173:174], v[102:103], v[158:159]
	v_fma_f64 v[142:143], v[142:143], v[64:65], v[175:176]
	v_fma_f64 v[148:149], v[148:149], v[76:77], -v[181:182]
	v_fma_f64 v[150:151], v[150:151], v[76:77], v[183:184]
	v_fma_f64 v[152:153], v[152:153], v[72:73], -v[185:186]
	v_fma_f64 v[154:155], v[154:155], v[72:73], v[199:200]
	v_add_f64 v[171:172], v[102:103], -v[158:159]
	v_add_f64 v[175:176], v[161:162], v[163:164]
	v_add_f64 v[84:85], v[90:91], v[92:93]
	;; [unrolled: 1-line block ×3, first 2 shown]
	v_fma_f64 v[140:141], v[167:168], -0.5, v[80:81]
	v_fma_f64 v[88:89], v[98:99], s[6:7], v[169:170]
	v_fma_f64 v[92:93], v[98:99], s[18:19], v[169:170]
	;; [unrolled: 1-line block ×4, first 2 shown]
	v_add_f64 v[98:99], v[82:83], v[102:103]
	v_fma_f64 v[102:103], v[173:174], -0.5, v[82:83]
	v_add_f64 v[144:145], v[100:101], -v[156:157]
	v_add_f64 v[80:81], v[146:147], v[156:157]
	v_add_f64 v[146:147], v[68:69], v[161:162]
	v_fma_f64 v[156:157], v[175:176], -0.5, v[68:69]
	v_add_f64 v[167:168], v[142:143], -v[165:166]
	v_fma_f64 v[96:97], v[171:172], s[6:7], v[140:141]
	v_add_f64 v[82:83], v[98:99], v[158:159]
	v_add_f64 v[158:159], v[142:143], v[165:166]
	v_fma_f64 v[98:99], v[144:145], s[18:19], v[102:103]
	v_fma_f64 v[102:103], v[144:145], s[6:7], v[102:103]
	v_add_f64 v[68:69], v[146:147], v[163:164]
	v_add_f64 v[144:145], v[148:149], v[152:153]
	;; [unrolled: 1-line block ×3, first 2 shown]
	v_fma_f64 v[100:101], v[171:172], s[18:19], v[140:141]
	v_fma_f64 v[140:141], v[167:168], s[6:7], v[156:157]
	;; [unrolled: 1-line block ×3, first 2 shown]
	v_add_f64 v[142:143], v[70:71], v[142:143]
	v_add_f64 v[161:162], v[161:162], -v[163:164]
	v_add_f64 v[163:164], v[60:61], v[148:149]
	v_fma_f64 v[60:61], v[144:145], -0.5, v[60:61]
	v_add_f64 v[167:168], v[150:151], -v[154:155]
	v_add_f64 v[150:151], v[62:63], v[150:151]
	v_fma_f64 v[62:63], v[146:147], -0.5, v[62:63]
	v_add_f64 v[169:170], v[148:149], -v[152:153]
	v_fma_f64 v[158:159], v[158:159], -0.5, v[70:71]
	v_add_f64 v[70:71], v[142:143], v[165:166]
	v_add_f64 v[148:149], v[163:164], v[152:153]
	ds_write_b128 v197, v[84:87]
	ds_write_b128 v197, v[88:91] offset:1600
	ds_write_b128 v197, v[92:95] offset:3200
	v_fma_f64 v[144:145], v[167:168], s[6:7], v[60:61]
	v_fma_f64 v[152:153], v[167:168], s[18:19], v[60:61]
	v_add_f64 v[150:151], v[150:151], v[154:155]
	v_fma_f64 v[146:147], v[169:170], s[18:19], v[62:63]
	v_fma_f64 v[154:155], v[169:170], s[6:7], v[62:63]
	;; [unrolled: 1-line block ×4, first 2 shown]
	v_mov_b32_e32 v60, 0x12c
	v_cndmask_b32_e32 v60, 0, v60, vcc
	v_add_u32_e32 v60, v160, v60
	v_lshl_add_u32 v199, v60, 4, v203
	v_mad_legacy_u16 v60, v187, s4, v189
	v_lshl_add_u32 v200, v60, 4, v203
	v_lshl_add_u32 v189, v206, 4, v203
	ds_write_b128 v199, v[80:83]
	ds_write_b128 v199, v[96:99] offset:1600
	ds_write_b128 v199, v[100:103] offset:3200
	ds_write_b128 v200, v[68:71]
	ds_write_b128 v200, v[140:143] offset:1600
	ds_write_b128 v200, v[156:159] offset:3200
	s_and_saveexec_b64 s[4:5], s[0:1]
	s_cbranch_execz .LBB0_5
; %bb.4:
	ds_write_b128 v189, v[148:151] offset:9600
	ds_write_b128 v189, v[144:147] offset:11200
	;; [unrolled: 1-line block ×3, first 2 shown]
.LBB0_5:
	s_or_b64 exec, exec, s[4:5]
	s_waitcnt lgkmcnt(0)
	s_barrier
	ds_read_b128 v[160:163], v197
	ds_read_b128 v[156:159], v197 offset:1440
	ds_read_b128 v[172:175], v197 offset:9600
	;; [unrolled: 1-line block ×8, first 2 shown]
	s_and_saveexec_b64 s[4:5], s[0:1]
	s_cbranch_execz .LBB0_7
; %bb.6:
	ds_read_b128 v[148:151], v197 offset:4320
	ds_read_b128 v[144:147], v197 offset:9120
	;; [unrolled: 1-line block ×3, first 2 shown]
.LBB0_7:
	s_or_b64 exec, exec, s[4:5]
	s_movk_i32 s6, 0x1220
	v_add_co_u32_e32 v60, vcc, s6, v195
	v_addc_co_u32_e32 v61, vcc, 0, v196, vcc
	s_movk_i32 s7, 0x1000
	v_add_co_u32_e32 v62, vcc, s7, v195
	v_addc_co_u32_e32 v63, vcc, 0, v196, vcc
	global_load_dwordx4 v[80:83], v[62:63], off offset:544
	global_load_dwordx4 v[84:87], v[60:61], off offset:16
	v_lshlrev_b64 v[60:61], 5, v[193:194]
	v_mov_b32_e32 v68, s15
	v_add_co_u32_e32 v62, vcc, s14, v60
	v_addc_co_u32_e32 v63, vcc, v68, v61, vcc
	v_add_co_u32_e32 v60, vcc, s6, v62
	v_addc_co_u32_e32 v61, vcc, 0, v63, vcc
	;; [unrolled: 2-line block ×3, first 2 shown]
	global_load_dwordx4 v[88:91], v[62:63], off offset:544
	global_load_dwordx4 v[92:95], v[60:61], off offset:16
	v_lshlrev_b64 v[60:61], 5, v[191:192]
	s_movk_i32 s4, 0xffe2
	v_add_co_u32_e32 v62, vcc, s14, v60
	v_addc_co_u32_e32 v63, vcc, v68, v61, vcc
	v_add_co_u32_e32 v60, vcc, s6, v62
	v_addc_co_u32_e32 v61, vcc, 0, v63, vcc
	v_add_co_u32_e32 v62, vcc, s7, v62
	v_addc_co_u32_e32 v63, vcc, 0, v63, vcc
	global_load_dwordx4 v[100:103], v[62:63], off offset:544
	global_load_dwordx4 v[96:99], v[60:61], off offset:16
	v_add_co_u32_e32 v60, vcc, s4, v188
	v_addc_co_u32_e64 v61, s[4:5], 0, -1, vcc
	v_cndmask_b32_e64 v61, v61, v205, s[0:1]
	v_cndmask_b32_e64 v60, v60, v204, s[0:1]
	v_lshlrev_b64 v[60:61], 5, v[60:61]
	s_mov_b32 s4, 0xe8584caa
	v_add_co_u32_e32 v69, vcc, s14, v60
	v_addc_co_u32_e32 v70, vcc, v68, v61, vcc
	v_add_co_u32_e32 v60, vcc, s7, v69
	v_addc_co_u32_e32 v61, vcc, 0, v70, vcc
	global_load_dwordx4 v[60:63], v[60:61], off offset:544
	v_add_co_u32_e32 v68, vcc, s6, v69
	v_addc_co_u32_e32 v69, vcc, 0, v70, vcc
	global_load_dwordx4 v[68:71], v[68:69], off offset:16
	s_mov_b32 s5, 0x3febb67a
	s_mov_b32 s7, 0xbfebb67a
	;; [unrolled: 1-line block ×3, first 2 shown]
	s_waitcnt vmcnt(7) lgkmcnt(4)
	v_mul_f64 v[191:192], v[186:187], v[82:83]
	v_mul_f64 v[193:194], v[184:185], v[82:83]
	s_waitcnt vmcnt(6)
	v_mul_f64 v[195:196], v[174:175], v[86:87]
	v_mul_f64 v[204:205], v[172:173], v[86:87]
	v_fma_f64 v[184:185], v[184:185], v[80:81], -v[191:192]
	v_fma_f64 v[186:187], v[186:187], v[80:81], v[193:194]
	v_fma_f64 v[172:173], v[172:173], v[84:85], -v[195:196]
	v_fma_f64 v[174:175], v[174:175], v[84:85], v[204:205]
	s_waitcnt vmcnt(5) lgkmcnt(2)
	v_mul_f64 v[206:207], v[182:183], v[90:91]
	s_waitcnt vmcnt(4)
	v_mul_f64 v[210:211], v[166:167], v[94:95]
	v_mul_f64 v[208:209], v[180:181], v[90:91]
	;; [unrolled: 1-line block ×3, first 2 shown]
	v_fma_f64 v[180:181], v[180:181], v[88:89], -v[206:207]
	v_fma_f64 v[191:192], v[164:165], v[92:93], -v[210:211]
	v_fma_f64 v[182:183], v[182:183], v[88:89], v[208:209]
	v_fma_f64 v[193:194], v[166:167], v[92:93], v[212:213]
	s_waitcnt vmcnt(3) lgkmcnt(1)
	v_mul_f64 v[214:215], v[178:179], v[102:103]
	s_waitcnt vmcnt(2) lgkmcnt(0)
	v_mul_f64 v[218:219], v[170:171], v[98:99]
	v_mul_f64 v[216:217], v[176:177], v[102:103]
	;; [unrolled: 1-line block ×3, first 2 shown]
	v_add_f64 v[208:209], v[156:157], v[180:181]
	v_add_f64 v[212:213], v[182:183], v[193:194]
	v_fma_f64 v[195:196], v[176:177], v[100:101], -v[214:215]
	v_fma_f64 v[206:207], v[168:169], v[96:97], -v[218:219]
	v_add_f64 v[168:169], v[184:185], v[172:173]
	v_fma_f64 v[204:205], v[178:179], v[100:101], v[216:217]
	v_fma_f64 v[210:211], v[170:171], v[96:97], v[220:221]
	v_add_f64 v[170:171], v[186:187], -v[174:175]
	v_add_f64 v[178:179], v[162:163], v[186:187]
	s_waitcnt vmcnt(1)
	v_mul_f64 v[222:223], v[146:147], v[62:63]
	v_mul_f64 v[224:225], v[144:145], v[62:63]
	v_fma_f64 v[176:177], v[168:169], -0.5, v[160:161]
	s_waitcnt vmcnt(0)
	v_mul_f64 v[226:227], v[154:155], v[70:71]
	v_mul_f64 v[228:229], v[152:153], v[70:71]
	v_fma_f64 v[164:165], v[144:145], v[60:61], -v[222:223]
	v_add_f64 v[144:145], v[186:187], v[174:175]
	v_fma_f64 v[166:167], v[146:147], v[60:61], v[224:225]
	v_add_f64 v[146:147], v[160:161], v[184:185]
	v_add_f64 v[186:187], v[180:181], v[191:192]
	v_add_f64 v[184:185], v[184:185], -v[172:173]
	v_fma_f64 v[152:153], v[152:153], v[68:69], -v[226:227]
	v_fma_f64 v[154:155], v[154:155], v[68:69], v[228:229]
	v_fma_f64 v[168:169], v[170:171], s[4:5], v[176:177]
	v_fma_f64 v[144:145], v[144:145], -0.5, v[162:163]
	v_add_f64 v[162:163], v[178:179], v[174:175]
	v_add_f64 v[160:161], v[146:147], v[172:173]
	v_fma_f64 v[172:173], v[170:171], s[6:7], v[176:177]
	v_fma_f64 v[146:147], v[186:187], -0.5, v[156:157]
	v_add_f64 v[186:187], v[182:183], -v[193:194]
	v_add_f64 v[178:179], v[158:159], v[182:183]
	v_fma_f64 v[182:183], v[212:213], -0.5, v[158:159]
	v_fma_f64 v[170:171], v[184:185], s[6:7], v[144:145]
	v_fma_f64 v[174:175], v[184:185], s[4:5], v[144:145]
	v_add_f64 v[144:145], v[140:141], v[195:196]
	v_add_f64 v[212:213], v[180:181], -v[191:192]
	v_add_f64 v[156:157], v[208:209], v[191:192]
	v_fma_f64 v[176:177], v[186:187], s[4:5], v[146:147]
	v_fma_f64 v[180:181], v[186:187], s[6:7], v[146:147]
	v_add_f64 v[146:147], v[195:196], v[206:207]
	v_add_f64 v[186:187], v[204:205], v[210:211]
	v_add_f64 v[191:192], v[164:165], v[152:153]
	v_add_f64 v[184:185], v[144:145], v[206:207]
	v_add_f64 v[144:145], v[166:167], v[154:155]
	v_add_f64 v[158:159], v[178:179], v[193:194]
	v_fma_f64 v[178:179], v[212:213], s[6:7], v[182:183]
	v_fma_f64 v[182:183], v[212:213], s[4:5], v[182:183]
	v_fma_f64 v[140:141], v[146:147], -0.5, v[140:141]
	v_add_f64 v[146:147], v[204:205], -v[210:211]
	v_add_f64 v[193:194], v[142:143], v[204:205]
	v_fma_f64 v[142:143], v[186:187], -0.5, v[142:143]
	v_add_f64 v[195:196], v[195:196], -v[206:207]
	v_fma_f64 v[191:192], v[191:192], -0.5, v[148:149]
	v_add_f64 v[212:213], v[166:167], -v[154:155]
	;; [unrolled: 2-line block ×3, first 2 shown]
	v_fma_f64 v[204:205], v[146:147], s[4:5], v[140:141]
	v_fma_f64 v[208:209], v[146:147], s[6:7], v[140:141]
	v_add_f64 v[186:187], v[193:194], v[210:211]
	v_fma_f64 v[206:207], v[195:196], s[6:7], v[142:143]
	v_fma_f64 v[210:211], v[195:196], s[4:5], v[142:143]
	;; [unrolled: 1-line block ×6, first 2 shown]
	v_lshl_add_u32 v193, v188, 4, v203
	ds_write_b128 v197, v[160:163]
	ds_write_b128 v193, v[168:171] offset:4800
	ds_write_b128 v193, v[172:175] offset:9600
	;; [unrolled: 1-line block ×8, first 2 shown]
	s_and_saveexec_b64 s[4:5], s[0:1]
	s_cbranch_execz .LBB0_9
; %bb.8:
	v_add_f64 v[150:151], v[150:151], v[166:167]
	v_add_f64 v[148:149], v[148:149], v[164:165]
	;; [unrolled: 1-line block ×4, first 2 shown]
	ds_write_b128 v197, v[148:151] offset:4320
	ds_write_b128 v193, v[140:143] offset:9120
	;; [unrolled: 1-line block ×3, first 2 shown]
.LBB0_9:
	s_or_b64 exec, exec, s[4:5]
	v_mov_b32_e32 v148, s13
	v_addc_co_u32_e64 v162, vcc, 0, v148, s[2:3]
	s_movk_i32 s2, 0x3840
	v_add_co_u32_e32 v160, vcc, s2, v202
	v_addc_co_u32_e32 v161, vcc, 0, v162, vcc
	s_movk_i32 s2, 0x3000
	v_add_co_u32_e32 v152, vcc, s2, v202
	v_addc_co_u32_e32 v153, vcc, 0, v162, vcc
	s_waitcnt lgkmcnt(0)
	s_barrier
	global_load_dwordx4 v[152:155], v[152:153], off offset:2112
	ds_read_b128 v[148:151], v197
	s_movk_i32 s2, 0x4000
	s_mov_b32 s14, 0x134454ff
	s_mov_b32 s15, 0xbfee6f0e
	;; [unrolled: 1-line block ×15, first 2 shown]
	s_waitcnt vmcnt(0) lgkmcnt(0)
	v_mul_f64 v[156:157], v[150:151], v[154:155]
	v_fma_f64 v[156:157], v[148:149], v[152:153], -v[156:157]
	v_mul_f64 v[148:149], v[148:149], v[154:155]
	v_fma_f64 v[158:159], v[150:151], v[152:153], v[148:149]
	global_load_dwordx4 v[152:155], v[160:161], off offset:1440
	ds_read_b128 v[148:151], v197 offset:1440
	ds_write_b128 v197, v[156:159]
	s_waitcnt vmcnt(0) lgkmcnt(1)
	v_mul_f64 v[156:157], v[150:151], v[154:155]
	v_fma_f64 v[156:157], v[148:149], v[152:153], -v[156:157]
	v_mul_f64 v[148:149], v[148:149], v[154:155]
	v_fma_f64 v[158:159], v[150:151], v[152:153], v[148:149]
	global_load_dwordx4 v[152:155], v[160:161], off offset:2880
	ds_read_b128 v[148:151], v197 offset:2880
	v_add_co_u32_e32 v160, vcc, s2, v202
	v_addc_co_u32_e32 v161, vcc, 0, v162, vcc
	s_movk_i32 s2, 0x5000
	ds_write_b128 v197, v[156:159] offset:1440
	s_waitcnt vmcnt(0) lgkmcnt(1)
	v_mul_f64 v[156:157], v[150:151], v[154:155]
	v_fma_f64 v[156:157], v[148:149], v[152:153], -v[156:157]
	v_mul_f64 v[148:149], v[148:149], v[154:155]
	v_fma_f64 v[158:159], v[150:151], v[152:153], v[148:149]
	global_load_dwordx4 v[152:155], v[160:161], off offset:2336
	ds_read_b128 v[148:151], v197 offset:4320
	ds_write_b128 v197, v[156:159] offset:2880
	s_waitcnt vmcnt(0) lgkmcnt(1)
	v_mul_f64 v[156:157], v[150:151], v[154:155]
	v_fma_f64 v[156:157], v[148:149], v[152:153], -v[156:157]
	v_mul_f64 v[148:149], v[148:149], v[154:155]
	v_fma_f64 v[158:159], v[150:151], v[152:153], v[148:149]
	global_load_dwordx4 v[152:155], v[160:161], off offset:3776
	ds_read_b128 v[148:151], v197 offset:5760
	v_add_co_u32_e32 v160, vcc, s2, v202
	v_addc_co_u32_e32 v161, vcc, 0, v162, vcc
	s_movk_i32 s2, 0x6000
	ds_write_b128 v197, v[156:159] offset:4320
	s_waitcnt vmcnt(0) lgkmcnt(1)
	v_mul_f64 v[156:157], v[150:151], v[154:155]
	v_fma_f64 v[156:157], v[148:149], v[152:153], -v[156:157]
	v_mul_f64 v[148:149], v[148:149], v[154:155]
	v_fma_f64 v[158:159], v[150:151], v[152:153], v[148:149]
	global_load_dwordx4 v[152:155], v[160:161], off offset:1120
	ds_read_b128 v[148:151], v197 offset:7200
	ds_write_b128 v197, v[156:159] offset:5760
	s_waitcnt vmcnt(0) lgkmcnt(1)
	v_mul_f64 v[156:157], v[150:151], v[154:155]
	v_fma_f64 v[156:157], v[148:149], v[152:153], -v[156:157]
	v_mul_f64 v[148:149], v[148:149], v[154:155]
	v_fma_f64 v[158:159], v[150:151], v[152:153], v[148:149]
	global_load_dwordx4 v[152:155], v[160:161], off offset:2560
	ds_read_b128 v[148:151], v197 offset:8640
	ds_write_b128 v197, v[156:159] offset:7200
	s_waitcnt vmcnt(0) lgkmcnt(1)
	v_mul_f64 v[156:157], v[150:151], v[154:155]
	v_fma_f64 v[156:157], v[148:149], v[152:153], -v[156:157]
	v_mul_f64 v[148:149], v[148:149], v[154:155]
	v_fma_f64 v[158:159], v[150:151], v[152:153], v[148:149]
	global_load_dwordx4 v[152:155], v[160:161], off offset:4000
	ds_read_b128 v[148:151], v197 offset:10080
	v_add_co_u32_e32 v160, vcc, s2, v202
	v_addc_co_u32_e32 v161, vcc, 0, v162, vcc
	s_mov_b32 s2, s12
	ds_write_b128 v197, v[156:159] offset:8640
	s_waitcnt vmcnt(0) lgkmcnt(1)
	v_mul_f64 v[156:157], v[150:151], v[154:155]
	v_fma_f64 v[156:157], v[148:149], v[152:153], -v[156:157]
	v_mul_f64 v[148:149], v[148:149], v[154:155]
	v_fma_f64 v[158:159], v[150:151], v[152:153], v[148:149]
	global_load_dwordx4 v[152:155], v[160:161], off offset:1344
	ds_read_b128 v[148:151], v197 offset:11520
	ds_write_b128 v197, v[156:159] offset:10080
	s_waitcnt vmcnt(0) lgkmcnt(1)
	v_mul_f64 v[156:157], v[150:151], v[154:155]
	v_fma_f64 v[156:157], v[148:149], v[152:153], -v[156:157]
	v_mul_f64 v[148:149], v[148:149], v[154:155]
	v_fma_f64 v[158:159], v[150:151], v[152:153], v[148:149]
	global_load_dwordx4 v[152:155], v[160:161], off offset:2784
	ds_read_b128 v[148:151], v197 offset:12960
	ds_write_b128 v197, v[156:159] offset:11520
	s_waitcnt vmcnt(0) lgkmcnt(1)
	v_mul_f64 v[156:157], v[150:151], v[154:155]
	v_fma_f64 v[156:157], v[148:149], v[152:153], -v[156:157]
	v_mul_f64 v[148:149], v[148:149], v[154:155]
	v_fma_f64 v[158:159], v[150:151], v[152:153], v[148:149]
	ds_write_b128 v197, v[156:159] offset:12960
	s_waitcnt lgkmcnt(0)
	s_barrier
	ds_read_b128 v[182:185], v197
	ds_read_b128 v[152:155], v197 offset:1440
	ds_read_b128 v[202:205], v197 offset:2880
	;; [unrolled: 1-line block ×9, first 2 shown]
	s_waitcnt lgkmcnt(5)
	v_add_f64 v[176:177], v[202:203], -v[206:207]
	s_waitcnt lgkmcnt(3)
	v_add_f64 v[170:171], v[206:207], v[210:211]
	v_add_f64 v[178:179], v[208:209], -v[212:213]
	s_waitcnt lgkmcnt(1)
	v_add_f64 v[174:175], v[204:205], -v[216:217]
	v_add_f64 v[180:181], v[214:215], -v[210:211]
	v_add_f64 v[168:169], v[182:183], v[202:203]
	v_add_f64 v[186:187], v[210:211], -v[214:215]
	v_add_f64 v[191:192], v[206:207], -v[210:211]
	;; [unrolled: 1-line block ×3, first 2 shown]
	v_fma_f64 v[170:171], v[170:171], -0.5, v[182:183]
	s_waitcnt lgkmcnt(0)
	s_barrier
	v_add_f64 v[176:177], v[176:177], v[180:181]
	v_add_f64 v[168:169], v[168:169], v[206:207]
	v_fma_f64 v[172:173], v[174:175], s[14:15], v[170:171]
	v_fma_f64 v[170:171], v[174:175], s[4:5], v[170:171]
	v_add_f64 v[168:169], v[168:169], v[210:211]
	v_add_f64 v[210:211], v[164:165], -v[160:161]
	v_fma_f64 v[172:173], v[178:179], s[12:13], v[172:173]
	v_fma_f64 v[170:171], v[178:179], s[2:3], v[170:171]
	v_add_f64 v[168:169], v[168:169], v[214:215]
	v_fma_f64 v[172:173], v[176:177], s[6:7], v[172:173]
	v_fma_f64 v[170:171], v[176:177], s[6:7], v[170:171]
	v_add_f64 v[176:177], v[202:203], v[214:215]
	v_fma_f64 v[180:181], v[176:177], -0.5, v[182:183]
	v_add_f64 v[182:183], v[206:207], -v[202:203]
	v_add_f64 v[206:207], v[158:159], -v[162:163]
	v_fma_f64 v[176:177], v[178:179], s[4:5], v[180:181]
	v_fma_f64 v[178:179], v[178:179], s[14:15], v[180:181]
	v_add_f64 v[182:183], v[182:183], v[186:187]
	v_add_f64 v[180:181], v[208:209], v[212:213]
	v_add_f64 v[186:187], v[202:203], -v[214:215]
	v_add_f64 v[202:203], v[216:217], -v[212:213]
	v_fma_f64 v[176:177], v[174:175], s[12:13], v[176:177]
	v_fma_f64 v[174:175], v[174:175], s[2:3], v[178:179]
	v_add_f64 v[194:195], v[194:195], v[202:203]
	v_add_f64 v[202:203], v[208:209], -v[204:205]
	v_fma_f64 v[176:177], v[182:183], s[6:7], v[176:177]
	v_fma_f64 v[178:179], v[182:183], s[6:7], v[174:175]
	v_fma_f64 v[182:183], v[180:181], -0.5, v[184:185]
	v_add_f64 v[174:175], v[184:185], v[204:205]
	v_fma_f64 v[180:181], v[186:187], s[4:5], v[182:183]
	v_fma_f64 v[182:183], v[186:187], s[14:15], v[182:183]
	v_add_f64 v[174:175], v[174:175], v[208:209]
	v_add_f64 v[208:209], v[148:149], -v[156:157]
	v_fma_f64 v[180:181], v[191:192], s[2:3], v[180:181]
	v_fma_f64 v[182:183], v[191:192], s[12:13], v[182:183]
	v_add_f64 v[174:175], v[174:175], v[212:213]
	v_add_f64 v[208:209], v[208:209], v[210:211]
	v_add_f64 v[210:211], v[156:157], -v[148:149]
	v_fma_f64 v[180:181], v[194:195], s[6:7], v[180:181]
	v_fma_f64 v[182:183], v[194:195], s[6:7], v[182:183]
	v_add_f64 v[194:195], v[204:205], v[216:217]
	v_add_f64 v[204:205], v[212:213], -v[216:217]
	v_add_f64 v[212:213], v[160:161], -v[164:165]
	v_add_f64 v[174:175], v[174:175], v[216:217]
	v_fma_f64 v[194:195], v[194:195], -0.5, v[184:185]
	v_add_f64 v[202:203], v[202:203], v[204:205]
	v_add_f64 v[210:211], v[210:211], v[212:213]
	v_fma_f64 v[184:185], v[191:192], s[14:15], v[194:195]
	v_fma_f64 v[191:192], v[191:192], s[4:5], v[194:195]
	v_add_f64 v[194:195], v[156:157], v[160:161]
	v_fma_f64 v[184:185], v[186:187], s[2:3], v[184:185]
	v_fma_f64 v[186:187], v[186:187], s[12:13], v[191:192]
	v_fma_f64 v[194:195], v[194:195], -0.5, v[152:153]
	v_add_f64 v[191:192], v[152:153], v[148:149]
	v_fma_f64 v[184:185], v[202:203], s[6:7], v[184:185]
	v_fma_f64 v[186:187], v[202:203], s[6:7], v[186:187]
	v_add_f64 v[202:203], v[150:151], -v[166:167]
	v_add_f64 v[191:192], v[191:192], v[156:157]
	v_add_f64 v[156:157], v[156:157], -v[160:161]
	v_fma_f64 v[204:205], v[202:203], s[14:15], v[194:195]
	v_fma_f64 v[194:195], v[202:203], s[4:5], v[194:195]
	v_add_f64 v[191:192], v[191:192], v[160:161]
	v_fma_f64 v[204:205], v[206:207], s[12:13], v[204:205]
	v_fma_f64 v[194:195], v[206:207], s[2:3], v[194:195]
	v_add_f64 v[191:192], v[191:192], v[164:165]
	;; [unrolled: 3-line block ×3, first 2 shown]
	v_add_f64 v[148:149], v[148:149], -v[164:165]
	v_fma_f64 v[152:153], v[208:209], -0.5, v[152:153]
	v_fma_f64 v[208:209], v[206:207], s[4:5], v[152:153]
	v_fma_f64 v[152:153], v[206:207], s[14:15], v[152:153]
	v_add_f64 v[206:207], v[166:167], -v[162:163]
	v_fma_f64 v[208:209], v[202:203], s[12:13], v[208:209]
	v_fma_f64 v[152:153], v[202:203], s[2:3], v[152:153]
	;; [unrolled: 1-line block ×4, first 2 shown]
	v_add_f64 v[152:153], v[154:155], v[150:151]
	v_add_f64 v[152:153], v[152:153], v[158:159]
	;; [unrolled: 1-line block ×5, first 2 shown]
	v_fma_f64 v[152:153], v[152:153], -0.5, v[154:155]
	v_fma_f64 v[164:165], v[148:149], s[4:5], v[152:153]
	v_fma_f64 v[152:153], v[148:149], s[14:15], v[152:153]
	v_fma_f64 v[160:161], v[156:157], s[2:3], v[164:165]
	v_add_f64 v[164:165], v[150:151], -v[158:159]
	v_fma_f64 v[152:153], v[156:157], s[12:13], v[152:153]
	v_add_f64 v[164:165], v[164:165], v[206:207]
	v_fma_f64 v[212:213], v[164:165], s[6:7], v[152:153]
	v_add_f64 v[152:153], v[150:151], v[166:167]
	v_add_f64 v[150:151], v[158:159], -v[150:151]
	v_add_f64 v[158:159], v[162:163], -v[166:167]
	v_fma_f64 v[206:207], v[164:165], s[6:7], v[160:161]
	v_mul_f64 v[166:167], v[212:213], s[22:23]
	v_fma_f64 v[152:153], v[152:153], -0.5, v[154:155]
	v_add_f64 v[150:151], v[150:151], v[158:159]
	v_fma_f64 v[154:155], v[156:157], s[14:15], v[152:153]
	v_fma_f64 v[152:153], v[156:157], s[4:5], v[152:153]
	;; [unrolled: 1-line block ×6, first 2 shown]
	v_mul_f64 v[150:151], v[206:207], s[12:13]
	v_mul_f64 v[154:155], v[204:205], s[2:3]
	v_add_f64 v[148:149], v[168:169], v[191:192]
	v_add_f64 v[168:169], v[168:169], -v[191:192]
	v_fma_f64 v[214:215], v[204:205], s[18:19], v[150:151]
	v_mul_f64 v[150:151], v[158:159], s[14:15]
	v_mul_f64 v[158:159], v[158:159], s[6:7]
	v_fma_f64 v[204:205], v[206:207], s[18:19], v[154:155]
	v_add_f64 v[152:153], v[172:173], v[214:215]
	v_fma_f64 v[216:217], v[208:209], s[6:7], v[150:151]
	v_mul_f64 v[150:151], v[162:163], s[14:15]
	v_mul_f64 v[162:163], v[162:163], s[20:21]
	v_fma_f64 v[208:209], v[208:209], s[4:5], v[158:159]
	v_add_f64 v[154:155], v[180:181], v[204:205]
	v_add_f64 v[172:173], v[172:173], -v[214:215]
	v_add_f64 v[156:157], v[176:177], v[216:217]
	v_fma_f64 v[218:219], v[202:203], s[20:21], v[150:151]
	v_mul_f64 v[150:151], v[212:213], s[12:13]
	v_fma_f64 v[222:223], v[202:203], s[4:5], v[162:163]
	v_add_f64 v[158:159], v[184:185], v[208:209]
	v_add_f64 v[176:177], v[176:177], -v[216:217]
	v_add_f64 v[160:161], v[178:179], v[218:219]
	v_fma_f64 v[220:221], v[194:195], s[22:23], v[150:151]
	v_fma_f64 v[194:195], v[194:195], s[2:3], v[166:167]
	v_add_f64 v[150:151], v[174:175], v[210:211]
	v_add_f64 v[162:163], v[186:187], v[222:223]
	v_add_f64 v[202:203], v[178:179], -v[218:219]
	v_add_f64 v[178:179], v[184:185], -v[208:209]
	v_add_f64 v[164:165], v[170:171], v[220:221]
	v_add_f64 v[166:167], v[182:183], v[194:195]
	v_add_f64 v[206:207], v[170:171], -v[220:221]
	v_add_f64 v[170:171], v[174:175], -v[210:211]
	;; [unrolled: 1-line block ×5, first 2 shown]
	ds_write_b128 v201, v[148:151]
	ds_write_b128 v201, v[152:155] offset:16
	ds_write_b128 v201, v[156:159] offset:32
	;; [unrolled: 1-line block ×9, first 2 shown]
	s_waitcnt lgkmcnt(0)
	s_barrier
	ds_read_b128 v[148:151], v197
	ds_read_b128 v[154:157], v197 offset:1440
	ds_read_b128 v[158:161], v197 offset:2880
	;; [unrolled: 1-line block ×9, first 2 shown]
	s_waitcnt lgkmcnt(8)
	v_mul_f64 v[152:153], v[130:131], v[156:157]
	v_mul_f64 v[130:131], v[130:131], v[154:155]
	s_waitcnt lgkmcnt(0)
	s_barrier
	v_fma_f64 v[152:153], v[128:129], v[154:155], v[152:153]
	v_fma_f64 v[128:129], v[128:129], v[156:157], -v[130:131]
	v_mul_f64 v[130:131], v[126:127], v[160:161]
	v_mul_f64 v[126:127], v[126:127], v[158:159]
	v_fma_f64 v[130:131], v[124:125], v[158:159], v[130:131]
	v_fma_f64 v[156:157], v[124:125], v[160:161], -v[126:127]
	v_mul_f64 v[124:125], v[122:123], v[164:165]
	v_mul_f64 v[122:123], v[122:123], v[162:163]
	;; [unrolled: 4-line block ×4, first 2 shown]
	v_fma_f64 v[126:127], v[136:137], v[170:171], v[112:113]
	v_mul_f64 v[112:113], v[138:139], v[170:171]
	v_fma_f64 v[138:139], v[116:117], v[174:175], v[114:115]
	v_mul_f64 v[114:115], v[118:119], v[174:175]
	v_fma_f64 v[112:113], v[136:137], v[172:173], -v[112:113]
	v_fma_f64 v[162:163], v[116:117], v[176:177], -v[114:115]
	v_mul_f64 v[114:115], v[110:111], v[180:181]
	v_mul_f64 v[110:111], v[110:111], v[178:179]
	v_add_f64 v[116:117], v[160:161], -v[162:163]
	v_fma_f64 v[136:137], v[108:109], v[178:179], v[114:115]
	v_fma_f64 v[118:119], v[108:109], v[180:181], -v[110:111]
	v_mul_f64 v[108:109], v[106:107], v[184:185]
	v_mul_f64 v[106:107], v[106:107], v[182:183]
	v_add_f64 v[114:115], v[130:131], -v[158:159]
	v_fma_f64 v[164:165], v[104:105], v[182:183], v[108:109]
	v_fma_f64 v[166:167], v[104:105], v[184:185], -v[106:107]
	v_mul_f64 v[104:105], v[134:135], v[203:204]
	v_add_f64 v[106:107], v[158:159], v[138:139]
	v_add_f64 v[110:111], v[156:157], -v[166:167]
	v_fma_f64 v[154:155], v[132:133], v[201:202], v[104:105]
	v_mul_f64 v[104:105], v[134:135], v[201:202]
	v_fma_f64 v[106:107], v[106:107], -0.5, v[148:149]
	v_add_f64 v[134:135], v[158:159], -v[130:131]
	v_fma_f64 v[122:123], v[132:133], v[203:204], -v[104:105]
	v_fma_f64 v[108:109], v[110:111], s[14:15], v[106:107]
	v_add_f64 v[132:133], v[164:165], -v[138:139]
	v_fma_f64 v[106:107], v[110:111], s[4:5], v[106:107]
	v_add_f64 v[104:105], v[148:149], v[130:131]
	v_fma_f64 v[108:109], v[116:117], s[12:13], v[108:109]
	v_add_f64 v[114:115], v[114:115], v[132:133]
	;; [unrolled: 2-line block ×3, first 2 shown]
	v_fma_f64 v[108:109], v[114:115], s[6:7], v[108:109]
	v_fma_f64 v[106:107], v[114:115], s[6:7], v[106:107]
	v_add_f64 v[114:115], v[130:131], v[164:165]
	v_add_f64 v[104:105], v[104:105], v[138:139]
	v_fma_f64 v[132:133], v[114:115], -0.5, v[148:149]
	v_add_f64 v[148:149], v[138:139], -v[164:165]
	v_add_f64 v[138:139], v[158:159], -v[138:139]
	;; [unrolled: 1-line block ×3, first 2 shown]
	v_add_f64 v[104:105], v[104:105], v[164:165]
	v_fma_f64 v[114:115], v[116:117], s[4:5], v[132:133]
	v_fma_f64 v[116:117], v[116:117], s[14:15], v[132:133]
	v_add_f64 v[132:133], v[160:161], v[162:163]
	v_add_f64 v[134:135], v[134:135], v[148:149]
	v_add_f64 v[148:149], v[130:131], -v[164:165]
	v_add_f64 v[164:165], v[154:155], -v[136:137]
	v_fma_f64 v[114:115], v[110:111], s[12:13], v[114:115]
	v_fma_f64 v[110:111], v[110:111], s[2:3], v[116:117]
	v_fma_f64 v[132:133], v[132:133], -0.5, v[150:151]
	v_fma_f64 v[114:115], v[134:135], s[6:7], v[114:115]
	v_fma_f64 v[116:117], v[134:135], s[6:7], v[110:111]
	;; [unrolled: 1-line block ×3, first 2 shown]
	v_add_f64 v[134:135], v[156:157], -v[160:161]
	v_fma_f64 v[132:133], v[148:149], s[14:15], v[132:133]
	v_add_f64 v[110:111], v[150:151], v[156:157]
	v_fma_f64 v[130:131], v[138:139], s[2:3], v[130:131]
	v_add_f64 v[134:135], v[134:135], v[158:159]
	v_fma_f64 v[132:133], v[138:139], s[12:13], v[132:133]
	v_add_f64 v[158:159], v[162:163], -v[166:167]
	v_add_f64 v[110:111], v[110:111], v[160:161]
	v_fma_f64 v[130:131], v[134:135], s[6:7], v[130:131]
	v_fma_f64 v[132:133], v[134:135], s[6:7], v[132:133]
	v_add_f64 v[134:135], v[156:157], v[166:167]
	v_add_f64 v[156:157], v[160:161], -v[156:157]
	v_add_f64 v[110:111], v[110:111], v[162:163]
	v_add_f64 v[160:161], v[112:113], -v[118:119]
	v_add_f64 v[162:163], v[124:125], -v[126:127]
	v_fma_f64 v[150:151], v[134:135], -0.5, v[150:151]
	v_add_f64 v[156:157], v[156:157], v[158:159]
	v_add_f64 v[110:111], v[110:111], v[166:167]
	v_add_f64 v[166:167], v[136:137], -v[154:155]
	v_add_f64 v[162:163], v[162:163], v[164:165]
	v_add_f64 v[164:165], v[126:127], -v[124:125]
	v_fma_f64 v[134:135], v[138:139], s[14:15], v[150:151]
	v_fma_f64 v[138:139], v[138:139], s[4:5], v[150:151]
	v_add_f64 v[150:151], v[126:127], v[136:137]
	v_add_f64 v[164:165], v[164:165], v[166:167]
	v_fma_f64 v[134:135], v[148:149], s[2:3], v[134:135]
	v_fma_f64 v[138:139], v[148:149], s[12:13], v[138:139]
	v_fma_f64 v[150:151], v[150:151], -0.5, v[152:153]
	v_add_f64 v[148:149], v[152:153], v[124:125]
	v_fma_f64 v[134:135], v[156:157], s[6:7], v[134:135]
	v_fma_f64 v[138:139], v[156:157], s[6:7], v[138:139]
	v_add_f64 v[156:157], v[120:121], -v[122:123]
	v_add_f64 v[148:149], v[148:149], v[126:127]
	v_add_f64 v[126:127], v[126:127], -v[136:137]
	v_fma_f64 v[158:159], v[156:157], s[14:15], v[150:151]
	v_fma_f64 v[150:151], v[156:157], s[4:5], v[150:151]
	v_add_f64 v[148:149], v[148:149], v[136:137]
	v_fma_f64 v[158:159], v[160:161], s[12:13], v[158:159]
	v_fma_f64 v[150:151], v[160:161], s[2:3], v[150:151]
	v_add_f64 v[148:149], v[148:149], v[154:155]
	;; [unrolled: 3-line block ×3, first 2 shown]
	v_add_f64 v[124:125], v[124:125], -v[154:155]
	v_fma_f64 v[150:151], v[150:151], -0.5, v[152:153]
	v_fma_f64 v[152:153], v[160:161], s[4:5], v[150:151]
	v_fma_f64 v[150:151], v[160:161], s[14:15], v[150:151]
	;; [unrolled: 1-line block ×6, first 2 shown]
	v_add_f64 v[150:151], v[128:129], v[120:121]
	v_add_f64 v[164:165], v[122:123], -v[118:119]
	v_add_f64 v[150:151], v[150:151], v[112:113]
	v_add_f64 v[150:151], v[150:151], v[118:119]
	;; [unrolled: 1-line block ×4, first 2 shown]
	v_add_f64 v[118:119], v[118:119], -v[122:123]
	v_fma_f64 v[150:151], v[150:151], -0.5, v[128:129]
	v_fma_f64 v[154:155], v[124:125], s[4:5], v[150:151]
	v_fma_f64 v[150:151], v[124:125], s[14:15], v[150:151]
	;; [unrolled: 1-line block ×3, first 2 shown]
	v_add_f64 v[154:155], v[120:121], -v[112:113]
	v_fma_f64 v[150:151], v[126:127], s[12:13], v[150:151]
	v_add_f64 v[112:113], v[112:113], -v[120:121]
	v_add_f64 v[154:155], v[154:155], v[164:165]
	v_add_f64 v[112:113], v[112:113], v[118:119]
	v_fma_f64 v[164:165], v[154:155], s[6:7], v[150:151]
	v_add_f64 v[150:151], v[120:121], v[122:123]
	v_fma_f64 v[136:137], v[154:155], s[6:7], v[136:137]
	v_fma_f64 v[128:129], v[150:151], -0.5, v[128:129]
	v_mul_f64 v[120:121], v[136:137], s[12:13]
	v_fma_f64 v[150:151], v[126:127], s[14:15], v[128:129]
	v_fma_f64 v[118:119], v[126:127], s[4:5], v[128:129]
	;; [unrolled: 1-line block ×5, first 2 shown]
	v_mul_f64 v[124:125], v[136:137], s[18:19]
	v_add_f64 v[122:123], v[108:109], v[168:169]
	v_add_f64 v[108:109], v[108:109], -v[168:169]
	v_fma_f64 v[166:167], v[112:113], s[6:7], v[150:151]
	v_fma_f64 v[112:113], v[112:113], s[6:7], v[118:119]
	;; [unrolled: 1-line block ×3, first 2 shown]
	v_add_f64 v[118:119], v[104:105], v[148:149]
	v_mul_f64 v[120:121], v[166:167], s[14:15]
	v_mul_f64 v[128:129], v[166:167], s[6:7]
	v_add_f64 v[124:125], v[130:131], v[176:177]
	v_fma_f64 v[170:171], v[152:153], s[6:7], v[120:121]
	v_mul_f64 v[120:121], v[112:113], s[14:15]
	v_mul_f64 v[112:113], v[112:113], s[20:21]
	v_fma_f64 v[166:167], v[152:153], s[4:5], v[128:129]
	v_add_f64 v[126:127], v[114:115], v[170:171]
	v_fma_f64 v[172:173], v[156:157], s[20:21], v[120:121]
	v_mul_f64 v[120:121], v[164:165], s[12:13]
	v_fma_f64 v[178:179], v[156:157], s[4:5], v[112:113]
	v_mul_f64 v[112:113], v[164:165], s[22:23]
	v_add_f64 v[128:129], v[134:135], v[166:167]
	v_add_f64 v[158:159], v[114:115], -v[170:171]
	v_add_f64 v[114:115], v[110:111], -v[160:161]
	v_add_f64 v[150:151], v[116:117], v[172:173]
	v_fma_f64 v[174:175], v[162:163], s[22:23], v[120:121]
	v_add_f64 v[120:121], v[110:111], v[160:161]
	v_fma_f64 v[162:163], v[162:163], s[2:3], v[112:113]
	v_add_f64 v[152:153], v[138:139], v[178:179]
	v_add_f64 v[112:113], v[104:105], -v[148:149]
	v_add_f64 v[110:111], v[130:131], -v[176:177]
	;; [unrolled: 1-line block ×4, first 2 shown]
	v_add_f64 v[154:155], v[106:107], v[174:175]
	v_add_f64 v[138:139], v[138:139], -v[178:179]
	v_add_f64 v[156:157], v[132:133], v[162:163]
	v_add_f64 v[104:105], v[106:107], -v[174:175]
	v_add_f64 v[106:107], v[132:133], -v[162:163]
	ds_write_b128 v198, v[118:121]
	ds_write_b128 v198, v[122:125] offset:160
	ds_write_b128 v198, v[126:129] offset:320
	;; [unrolled: 1-line block ×9, first 2 shown]
	s_waitcnt lgkmcnt(0)
	s_barrier
	ds_read_b128 v[116:119], v197
	ds_read_b128 v[136:139], v197 offset:4800
	ds_read_b128 v[124:127], v197 offset:9600
	;; [unrolled: 1-line block ×8, first 2 shown]
	s_and_saveexec_b64 s[2:3], s[0:1]
	s_cbranch_execz .LBB0_11
; %bb.10:
	ds_read_b128 v[104:107], v197 offset:4320
	ds_read_b128 v[140:143], v197 offset:9120
	;; [unrolled: 1-line block ×3, first 2 shown]
.LBB0_11:
	s_or_b64 exec, exec, s[2:3]
	s_waitcnt lgkmcnt(7)
	v_mul_f64 v[152:153], v[46:47], v[138:139]
	v_mul_f64 v[46:47], v[46:47], v[136:137]
	s_waitcnt lgkmcnt(6)
	v_mul_f64 v[154:155], v[42:43], v[126:127]
	v_mul_f64 v[42:43], v[42:43], v[124:125]
	;; [unrolled: 3-line block ×4, first 2 shown]
	v_fma_f64 v[136:137], v[44:45], v[136:137], v[152:153]
	v_fma_f64 v[44:45], v[44:45], v[138:139], -v[46:47]
	v_fma_f64 v[46:47], v[40:41], v[124:125], v[154:155]
	s_waitcnt lgkmcnt(1)
	v_mul_f64 v[124:125], v[66:67], v[150:151]
	v_fma_f64 v[40:41], v[40:41], v[126:127], -v[42:43]
	v_mul_f64 v[42:43], v[66:67], v[148:149]
	v_fma_f64 v[126:127], v[52:53], v[128:129], v[156:157]
	v_fma_f64 v[128:129], v[52:53], v[130:131], -v[54:55]
	v_fma_f64 v[130:131], v[48:49], v[132:133], v[158:159]
	s_waitcnt lgkmcnt(0)
	v_mul_f64 v[52:53], v[58:59], v[122:123]
	v_fma_f64 v[48:49], v[48:49], v[134:135], -v[50:51]
	v_fma_f64 v[50:51], v[64:65], v[148:149], v[124:125]
	v_mul_f64 v[54:55], v[58:59], v[120:121]
	v_fma_f64 v[42:43], v[64:65], v[150:151], -v[42:43]
	v_mul_f64 v[58:59], v[78:79], v[142:143]
	v_mul_f64 v[64:65], v[78:79], v[140:141]
	v_add_f64 v[66:67], v[136:137], v[46:47]
	v_fma_f64 v[124:125], v[56:57], v[120:121], v[52:53]
	v_mul_f64 v[52:53], v[74:75], v[146:147]
	v_mul_f64 v[74:75], v[74:75], v[144:145]
	v_fma_f64 v[122:123], v[56:57], v[122:123], -v[54:55]
	v_add_f64 v[54:55], v[116:117], v[136:137]
	v_fma_f64 v[132:133], v[76:77], v[140:141], v[58:59]
	v_fma_f64 v[134:135], v[76:77], v[142:143], -v[64:65]
	v_fma_f64 v[58:59], v[66:67], -0.5, v[116:117]
	v_add_f64 v[64:65], v[44:45], -v[40:41]
	v_add_f64 v[66:67], v[44:45], v[40:41]
	v_add_f64 v[44:45], v[118:119], v[44:45]
	v_fma_f64 v[138:139], v[72:73], v[144:145], v[52:53]
	v_fma_f64 v[140:141], v[72:73], v[146:147], -v[74:75]
	v_add_f64 v[52:53], v[54:55], v[46:47]
	v_add_f64 v[72:73], v[126:127], v[130:131]
	v_add_f64 v[46:47], v[136:137], -v[46:47]
	s_mov_b32 s2, 0xe8584caa
	v_fma_f64 v[66:67], v[66:67], -0.5, v[118:119]
	v_add_f64 v[54:55], v[44:45], v[40:41]
	v_add_f64 v[40:41], v[128:129], v[48:49]
	;; [unrolled: 1-line block ×3, first 2 shown]
	s_mov_b32 s3, 0xbfebb67a
	s_mov_b32 s5, 0x3febb67a
	;; [unrolled: 1-line block ×3, first 2 shown]
	v_fma_f64 v[56:57], v[64:65], s[2:3], v[58:59]
	v_fma_f64 v[64:65], v[64:65], s[4:5], v[58:59]
	v_fma_f64 v[74:75], v[72:73], -0.5, v[112:113]
	v_add_f64 v[78:79], v[128:129], -v[48:49]
	v_fma_f64 v[58:59], v[46:47], s[4:5], v[66:67]
	v_add_f64 v[112:113], v[50:51], v[124:125]
	v_fma_f64 v[66:67], v[46:47], s[2:3], v[66:67]
	v_add_f64 v[46:47], v[114:115], v[128:129]
	v_fma_f64 v[40:41], v[40:41], -0.5, v[114:115]
	v_add_f64 v[114:115], v[126:127], -v[130:131]
	v_add_f64 v[72:73], v[44:45], v[130:131]
	v_add_f64 v[44:45], v[108:109], v[50:51]
	v_fma_f64 v[76:77], v[78:79], s[2:3], v[74:75]
	v_fma_f64 v[118:119], v[112:113], -0.5, v[108:109]
	v_fma_f64 v[112:113], v[78:79], s[4:5], v[74:75]
	v_add_f64 v[74:75], v[46:47], v[48:49]
	v_add_f64 v[46:47], v[42:43], v[122:123]
	v_fma_f64 v[78:79], v[114:115], s[4:5], v[40:41]
	v_fma_f64 v[114:115], v[114:115], s[2:3], v[40:41]
	v_add_f64 v[108:109], v[44:45], v[124:125]
	v_add_f64 v[40:41], v[132:133], v[138:139]
	;; [unrolled: 1-line block ×3, first 2 shown]
	v_add_f64 v[120:121], v[42:43], -v[122:123]
	v_add_f64 v[42:43], v[110:111], v[42:43]
	v_fma_f64 v[46:47], v[46:47], -0.5, v[110:111]
	v_add_f64 v[48:49], v[50:51], -v[124:125]
	v_add_f64 v[50:51], v[104:105], v[132:133]
	v_add_f64 v[124:125], v[134:135], -v[140:141]
	v_fma_f64 v[104:105], v[40:41], -0.5, v[104:105]
	v_add_f64 v[126:127], v[106:107], v[134:135]
	v_fma_f64 v[106:107], v[44:45], -0.5, v[106:107]
	v_add_f64 v[128:129], v[132:133], -v[138:139]
	v_fma_f64 v[116:117], v[120:121], s[2:3], v[118:119]
	v_fma_f64 v[120:121], v[120:121], s[4:5], v[118:119]
	v_add_f64 v[110:111], v[42:43], v[122:123]
	v_fma_f64 v[118:119], v[48:49], s[4:5], v[46:47]
	v_fma_f64 v[122:123], v[48:49], s[2:3], v[46:47]
	v_add_f64 v[40:41], v[50:51], v[138:139]
	;; [unrolled: 3-line block ×3, first 2 shown]
	v_fma_f64 v[46:47], v[128:129], s[4:5], v[106:107]
	v_fma_f64 v[50:51], v[128:129], s[2:3], v[106:107]
	s_barrier
	ds_write_b128 v197, v[52:55]
	ds_write_b128 v197, v[56:59] offset:1600
	ds_write_b128 v197, v[64:67] offset:3200
	ds_write_b128 v199, v[72:75]
	ds_write_b128 v199, v[76:79] offset:1600
	ds_write_b128 v199, v[112:115] offset:3200
	;; [unrolled: 3-line block ×3, first 2 shown]
	s_and_saveexec_b64 s[2:3], s[0:1]
	s_cbranch_execz .LBB0_13
; %bb.12:
	ds_write_b128 v189, v[40:43] offset:9600
	ds_write_b128 v189, v[44:47] offset:11200
	;; [unrolled: 1-line block ×3, first 2 shown]
.LBB0_13:
	s_or_b64 exec, exec, s[2:3]
	s_waitcnt lgkmcnt(0)
	s_barrier
	ds_read_b128 v[64:67], v197
	ds_read_b128 v[56:59], v197 offset:1440
	ds_read_b128 v[112:115], v197 offset:9600
	;; [unrolled: 1-line block ×8, first 2 shown]
	v_add_u32_e32 v120, 0xb40, v197
	s_and_saveexec_b64 s[2:3], s[0:1]
	s_cbranch_execz .LBB0_15
; %bb.14:
	ds_read_b128 v[40:43], v197 offset:4320
	ds_read_b128 v[44:47], v197 offset:9120
	;; [unrolled: 1-line block ×3, first 2 shown]
.LBB0_15:
	s_or_b64 exec, exec, s[2:3]
	s_waitcnt lgkmcnt(4)
	v_mul_f64 v[121:122], v[82:83], v[118:119]
	v_mul_f64 v[123:124], v[86:87], v[114:115]
	;; [unrolled: 1-line block ×4, first 2 shown]
	s_waitcnt lgkmcnt(2)
	v_mul_f64 v[125:126], v[90:91], v[110:111]
	v_mul_f64 v[90:91], v[90:91], v[108:109]
	;; [unrolled: 1-line block ×4, first 2 shown]
	v_fma_f64 v[116:117], v[80:81], v[116:117], v[121:122]
	v_fma_f64 v[112:113], v[84:85], v[112:113], v[123:124]
	s_waitcnt lgkmcnt(1)
	v_mul_f64 v[121:122], v[102:103], v[106:107]
	v_fma_f64 v[80:81], v[80:81], v[118:119], -v[82:83]
	v_fma_f64 v[82:83], v[84:85], v[114:115], -v[86:87]
	v_mul_f64 v[102:103], v[102:103], v[104:105]
	s_waitcnt lgkmcnt(0)
	v_mul_f64 v[123:124], v[98:99], v[74:75]
	v_mul_f64 v[98:99], v[98:99], v[72:73]
	v_fma_f64 v[86:87], v[88:89], v[108:109], v[125:126]
	v_add_f64 v[84:85], v[116:117], v[112:113]
	v_fma_f64 v[88:89], v[88:89], v[110:111], -v[90:91]
	v_fma_f64 v[90:91], v[92:93], v[76:77], v[127:128]
	v_fma_f64 v[92:93], v[92:93], v[78:79], -v[94:95]
	v_fma_f64 v[94:95], v[100:101], v[104:105], v[121:122]
	v_add_f64 v[104:105], v[80:81], v[82:83]
	v_fma_f64 v[100:101], v[100:101], v[106:107], -v[102:103]
	v_fma_f64 v[102:103], v[96:97], v[72:73], v[123:124]
	v_fma_f64 v[78:79], v[84:85], -0.5, v[64:65]
	v_add_f64 v[84:85], v[80:81], -v[82:83]
	v_add_f64 v[80:81], v[66:67], v[80:81]
	v_fma_f64 v[96:97], v[96:97], v[74:75], -v[98:99]
	v_add_f64 v[74:75], v[86:87], v[90:91]
	v_add_f64 v[76:77], v[64:65], v[116:117]
	v_fma_f64 v[98:99], v[104:105], -0.5, v[66:67]
	v_add_f64 v[104:105], v[116:117], -v[112:113]
	v_add_f64 v[106:107], v[56:57], v[86:87]
	s_mov_b32 s2, 0xe8584caa
	v_add_f64 v[66:67], v[80:81], v[82:83]
	v_add_f64 v[82:83], v[88:89], v[92:93]
	s_mov_b32 s3, 0xbfebb67a
	s_mov_b32 s4, s2
	v_fma_f64 v[108:109], v[74:75], -0.5, v[56:57]
	v_add_f64 v[110:111], v[88:89], -v[92:93]
	v_add_f64 v[64:65], v[76:77], v[112:113]
	v_fma_f64 v[72:73], v[84:85], s[2:3], v[78:79]
	v_fma_f64 v[76:77], v[84:85], s[4:5], v[78:79]
	;; [unrolled: 1-line block ×4, first 2 shown]
	v_add_f64 v[98:99], v[94:95], v[102:103]
	v_add_f64 v[104:105], v[100:101], v[96:97]
	;; [unrolled: 1-line block ×4, first 2 shown]
	v_fma_f64 v[106:107], v[82:83], -0.5, v[58:59]
	v_add_f64 v[86:87], v[86:87], -v[90:91]
	v_fma_f64 v[80:81], v[110:111], s[2:3], v[108:109]
	v_fma_f64 v[84:85], v[110:111], s[4:5], v[108:109]
	v_add_f64 v[90:91], v[52:53], v[94:95]
	v_add_f64 v[108:109], v[100:101], -v[96:97]
	v_add_f64 v[100:101], v[54:55], v[100:101]
	v_fma_f64 v[98:99], v[98:99], -0.5, v[52:53]
	v_fma_f64 v[104:105], v[104:105], -0.5, v[54:55]
	v_add_f64 v[94:95], v[94:95], -v[102:103]
	v_add_f64 v[58:59], v[88:89], v[92:93]
	v_fma_f64 v[82:83], v[86:87], s[4:5], v[106:107]
	v_fma_f64 v[86:87], v[86:87], s[2:3], v[106:107]
	v_add_f64 v[52:53], v[90:91], v[102:103]
	v_add_f64 v[54:55], v[100:101], v[96:97]
	v_fma_f64 v[88:89], v[108:109], s[2:3], v[98:99]
	v_fma_f64 v[92:93], v[108:109], s[4:5], v[98:99]
	;; [unrolled: 1-line block ×4, first 2 shown]
	ds_write_b128 v197, v[64:67]
	ds_write_b128 v193, v[72:75] offset:4800
	ds_write_b128 v193, v[76:79] offset:9600
	;; [unrolled: 1-line block ×8, first 2 shown]
	s_and_saveexec_b64 s[6:7], s[0:1]
	s_cbranch_execz .LBB0_17
; %bb.16:
	v_mul_f64 v[52:53], v[62:63], v[44:45]
	v_mul_f64 v[54:55], v[70:71], v[48:49]
	;; [unrolled: 1-line block ×4, first 2 shown]
	v_fma_f64 v[46:47], v[60:61], v[46:47], -v[52:53]
	v_fma_f64 v[50:51], v[68:69], v[50:51], -v[54:55]
	v_fma_f64 v[44:45], v[60:61], v[44:45], v[56:57]
	v_fma_f64 v[48:49], v[68:69], v[48:49], v[58:59]
	v_add_f64 v[58:59], v[42:43], v[46:47]
	v_add_f64 v[52:53], v[46:47], v[50:51]
	v_add_f64 v[60:61], v[46:47], -v[50:51]
	v_add_f64 v[54:55], v[44:45], v[48:49]
	v_add_f64 v[56:57], v[44:45], -v[48:49]
	v_add_f64 v[44:45], v[40:41], v[44:45]
	v_fma_f64 v[52:53], v[52:53], -0.5, v[42:43]
	v_add_f64 v[42:43], v[58:59], v[50:51]
	v_fma_f64 v[54:55], v[54:55], -0.5, v[40:41]
	v_add_f64 v[40:41], v[44:45], v[48:49]
	v_fma_f64 v[50:51], v[56:57], s[4:5], v[52:53]
	v_fma_f64 v[46:47], v[56:57], s[2:3], v[52:53]
	;; [unrolled: 1-line block ×4, first 2 shown]
	ds_write_b128 v197, v[40:43] offset:4320
	ds_write_b128 v193, v[48:51] offset:9120
	;; [unrolled: 1-line block ×3, first 2 shown]
.LBB0_17:
	s_or_b64 exec, exec, s[6:7]
	s_waitcnt lgkmcnt(0)
	s_barrier
	ds_read_b128 v[40:43], v197
	ds_read_b128 v[44:47], v197 offset:1440
	v_mad_u64_u32 v[48:49], s[0:1], s10, v190, 0
	s_mul_i32 s2, s9, 0x5a0
	s_waitcnt lgkmcnt(1)
	v_mul_f64 v[50:51], v[38:39], v[42:43]
	v_mul_f64 v[38:39], v[38:39], v[40:41]
	s_mul_hi_u32 s3, s8, 0x5a0
	s_add_i32 s2, s3, s2
	s_mul_i32 s3, s8, 0x5a0
	v_mad_u64_u32 v[52:53], s[0:1], s11, v190, v[49:50]
	v_mad_u64_u32 v[53:54], s[0:1], s8, v188, 0
	v_fma_f64 v[40:41], v[36:37], v[40:41], v[50:51]
	v_fma_f64 v[38:39], v[36:37], v[42:43], -v[38:39]
	v_mov_b32_e32 v36, v54
	v_mad_u64_u32 v[42:43], s[0:1], s9, v188, v[36:37]
	s_mov_b32 s0, 0x789abcdf
	s_mov_b32 s1, 0x3f523456
	v_mov_b32_e32 v54, v42
	s_waitcnt lgkmcnt(0)
	v_mul_f64 v[42:43], v[26:27], v[46:47]
	v_mul_f64 v[26:27], v[26:27], v[44:45]
	v_mov_b32_e32 v49, v52
	v_mul_f64 v[36:37], v[40:41], s[0:1]
	v_mul_f64 v[38:39], v[38:39], s[0:1]
	v_lshlrev_b64 v[40:41], 4, v[48:49]
	v_mov_b32_e32 v48, s17
	v_add_co_u32_e32 v49, vcc, s16, v40
	v_fma_f64 v[42:43], v[24:25], v[44:45], v[42:43]
	v_fma_f64 v[44:45], v[24:25], v[46:47], -v[26:27]
	ds_read_b128 v[24:27], v197 offset:2880
	v_addc_co_u32_e32 v48, vcc, v48, v41, vcc
	v_lshlrev_b64 v[40:41], 4, v[53:54]
	v_mov_b32_e32 v50, s2
	v_add_co_u32_e32 v46, vcc, v49, v40
	v_addc_co_u32_e32 v47, vcc, v48, v41, vcc
	global_store_dwordx4 v[46:47], v[36:39], off
	v_add_co_u32_e32 v46, vcc, s3, v46
	v_mul_f64 v[36:37], v[42:43], s[0:1]
	ds_read_b128 v[40:43], v197 offset:4320
	s_waitcnt lgkmcnt(1)
	v_mul_f64 v[48:49], v[6:7], v[26:27]
	v_mul_f64 v[6:7], v[6:7], v[24:25]
	;; [unrolled: 1-line block ×3, first 2 shown]
	v_addc_co_u32_e32 v47, vcc, v47, v50, vcc
	s_waitcnt lgkmcnt(0)
	v_mul_f64 v[44:45], v[34:35], v[42:43]
	v_mul_f64 v[34:35], v[34:35], v[40:41]
	v_fma_f64 v[24:25], v[4:5], v[24:25], v[48:49]
	v_fma_f64 v[6:7], v[4:5], v[26:27], -v[6:7]
	global_store_dwordx4 v[46:47], v[36:39], off
	v_mov_b32_e32 v48, s2
	v_fma_f64 v[36:37], v[32:33], v[40:41], v[44:45]
	v_fma_f64 v[38:39], v[32:33], v[42:43], -v[34:35]
	ds_read_b128 v[32:35], v197 offset:7200
	v_mul_f64 v[4:5], v[24:25], s[0:1]
	ds_read_b128 v[24:27], v197 offset:5760
	v_mul_f64 v[6:7], v[6:7], s[0:1]
	v_add_co_u32_e32 v42, vcc, s3, v46
	v_addc_co_u32_e32 v43, vcc, v47, v48, vcc
	s_waitcnt lgkmcnt(0)
	v_mul_f64 v[40:41], v[14:15], v[26:27]
	v_mul_f64 v[14:15], v[14:15], v[24:25]
	global_store_dwordx4 v[42:43], v[4:7], off
	s_nop 0
	v_mul_f64 v[4:5], v[36:37], s[0:1]
	v_mul_f64 v[6:7], v[38:39], s[0:1]
	v_mov_b32_e32 v37, s2
	v_add_co_u32_e32 v36, vcc, s3, v42
	v_fma_f64 v[24:25], v[12:13], v[24:25], v[40:41]
	v_fma_f64 v[12:13], v[12:13], v[26:27], -v[14:15]
	v_mul_f64 v[14:15], v[10:11], v[34:35]
	v_mul_f64 v[26:27], v[10:11], v[32:33]
	v_addc_co_u32_e32 v37, vcc, v43, v37, vcc
	global_store_dwordx4 v[36:37], v[4:7], off
	v_mov_b32_e32 v38, s2
	v_mul_f64 v[4:5], v[24:25], s[0:1]
	v_mul_f64 v[6:7], v[12:13], s[0:1]
	ds_read_b128 v[10:13], v197 offset:8640
	v_fma_f64 v[14:15], v[8:9], v[32:33], v[14:15]
	v_fma_f64 v[8:9], v[8:9], v[34:35], -v[26:27]
	ds_read_b128 v[24:27], v197 offset:10080
	v_add_co_u32_e32 v34, vcc, s3, v36
	s_waitcnt lgkmcnt(1)
	v_mul_f64 v[32:33], v[30:31], v[12:13]
	v_mul_f64 v[30:31], v[30:31], v[10:11]
	v_addc_co_u32_e32 v35, vcc, v37, v38, vcc
	global_store_dwordx4 v[34:35], v[4:7], off
	v_mov_b32_e32 v36, s2
	v_mul_f64 v[4:5], v[14:15], s[0:1]
	v_mul_f64 v[6:7], v[8:9], s[0:1]
	v_fma_f64 v[8:9], v[28:29], v[10:11], v[32:33]
	v_fma_f64 v[10:11], v[28:29], v[12:13], -v[30:31]
	s_waitcnt lgkmcnt(0)
	v_mul_f64 v[12:13], v[18:19], v[26:27]
	v_mul_f64 v[14:15], v[18:19], v[24:25]
	v_add_co_u32_e32 v18, vcc, s3, v34
	v_addc_co_u32_e32 v19, vcc, v35, v36, vcc
	global_store_dwordx4 v[18:19], v[4:7], off
	v_mov_b32_e32 v28, s2
	v_mul_f64 v[4:5], v[8:9], s[0:1]
	v_mul_f64 v[6:7], v[10:11], s[0:1]
	v_fma_f64 v[24:25], v[16:17], v[24:25], v[12:13]
	v_fma_f64 v[16:17], v[16:17], v[26:27], -v[14:15]
	ds_read_b128 v[8:11], v197 offset:11520
	ds_read_b128 v[12:15], v197 offset:12960
	v_add_co_u32_e32 v18, vcc, s3, v18
	v_addc_co_u32_e32 v19, vcc, v19, v28, vcc
	s_waitcnt lgkmcnt(1)
	v_mul_f64 v[26:27], v[2:3], v[10:11]
	v_mul_f64 v[28:29], v[2:3], v[8:9]
	s_waitcnt lgkmcnt(0)
	v_mul_f64 v[30:31], v[22:23], v[14:15]
	v_mul_f64 v[22:23], v[22:23], v[12:13]
	global_store_dwordx4 v[18:19], v[4:7], off
	v_mul_f64 v[2:3], v[24:25], s[0:1]
	v_mul_f64 v[4:5], v[16:17], s[0:1]
	v_mov_b32_e32 v16, s2
	v_fma_f64 v[6:7], v[0:1], v[8:9], v[26:27]
	v_fma_f64 v[8:9], v[0:1], v[10:11], -v[28:29]
	v_fma_f64 v[10:11], v[20:21], v[12:13], v[30:31]
	v_fma_f64 v[12:13], v[20:21], v[14:15], -v[22:23]
	v_add_co_u32_e32 v14, vcc, s3, v18
	v_addc_co_u32_e32 v15, vcc, v19, v16, vcc
	global_store_dwordx4 v[14:15], v[2:5], off
	v_mul_f64 v[0:1], v[6:7], s[0:1]
	v_mul_f64 v[2:3], v[8:9], s[0:1]
	;; [unrolled: 1-line block ×4, first 2 shown]
	v_mov_b32_e32 v9, s2
	v_add_co_u32_e32 v8, vcc, s3, v14
	v_addc_co_u32_e32 v9, vcc, v15, v9, vcc
	global_store_dwordx4 v[8:9], v[0:3], off
	s_nop 0
	v_mov_b32_e32 v1, s2
	v_add_co_u32_e32 v0, vcc, s3, v8
	v_addc_co_u32_e32 v1, vcc, v9, v1, vcc
	global_store_dwordx4 v[0:1], v[4:7], off
.LBB0_18:
	s_endpgm
	.section	.rodata,"a",@progbits
	.p2align	6, 0x0
	.amdhsa_kernel bluestein_single_fwd_len900_dim1_dp_op_CI_CI
		.amdhsa_group_segment_fixed_size 28800
		.amdhsa_private_segment_fixed_size 0
		.amdhsa_kernarg_size 104
		.amdhsa_user_sgpr_count 6
		.amdhsa_user_sgpr_private_segment_buffer 1
		.amdhsa_user_sgpr_dispatch_ptr 0
		.amdhsa_user_sgpr_queue_ptr 0
		.amdhsa_user_sgpr_kernarg_segment_ptr 1
		.amdhsa_user_sgpr_dispatch_id 0
		.amdhsa_user_sgpr_flat_scratch_init 0
		.amdhsa_user_sgpr_private_segment_size 0
		.amdhsa_uses_dynamic_stack 0
		.amdhsa_system_sgpr_private_segment_wavefront_offset 0
		.amdhsa_system_sgpr_workgroup_id_x 1
		.amdhsa_system_sgpr_workgroup_id_y 0
		.amdhsa_system_sgpr_workgroup_id_z 0
		.amdhsa_system_sgpr_workgroup_info 0
		.amdhsa_system_vgpr_workitem_id 0
		.amdhsa_next_free_vgpr 230
		.amdhsa_next_free_sgpr 26
		.amdhsa_reserve_vcc 1
		.amdhsa_reserve_flat_scratch 0
		.amdhsa_float_round_mode_32 0
		.amdhsa_float_round_mode_16_64 0
		.amdhsa_float_denorm_mode_32 3
		.amdhsa_float_denorm_mode_16_64 3
		.amdhsa_dx10_clamp 1
		.amdhsa_ieee_mode 1
		.amdhsa_fp16_overflow 0
		.amdhsa_exception_fp_ieee_invalid_op 0
		.amdhsa_exception_fp_denorm_src 0
		.amdhsa_exception_fp_ieee_div_zero 0
		.amdhsa_exception_fp_ieee_overflow 0
		.amdhsa_exception_fp_ieee_underflow 0
		.amdhsa_exception_fp_ieee_inexact 0
		.amdhsa_exception_int_div_zero 0
	.end_amdhsa_kernel
	.text
.Lfunc_end0:
	.size	bluestein_single_fwd_len900_dim1_dp_op_CI_CI, .Lfunc_end0-bluestein_single_fwd_len900_dim1_dp_op_CI_CI
                                        ; -- End function
	.section	.AMDGPU.csdata,"",@progbits
; Kernel info:
; codeLenInByte = 13568
; NumSgprs: 30
; NumVgprs: 230
; ScratchSize: 0
; MemoryBound: 0
; FloatMode: 240
; IeeeMode: 1
; LDSByteSize: 28800 bytes/workgroup (compile time only)
; SGPRBlocks: 3
; VGPRBlocks: 57
; NumSGPRsForWavesPerEU: 30
; NumVGPRsForWavesPerEU: 230
; Occupancy: 1
; WaveLimiterHint : 1
; COMPUTE_PGM_RSRC2:SCRATCH_EN: 0
; COMPUTE_PGM_RSRC2:USER_SGPR: 6
; COMPUTE_PGM_RSRC2:TRAP_HANDLER: 0
; COMPUTE_PGM_RSRC2:TGID_X_EN: 1
; COMPUTE_PGM_RSRC2:TGID_Y_EN: 0
; COMPUTE_PGM_RSRC2:TGID_Z_EN: 0
; COMPUTE_PGM_RSRC2:TIDIG_COMP_CNT: 0
	.type	__hip_cuid_a4b3f01f865213cc,@object ; @__hip_cuid_a4b3f01f865213cc
	.section	.bss,"aw",@nobits
	.globl	__hip_cuid_a4b3f01f865213cc
__hip_cuid_a4b3f01f865213cc:
	.byte	0                               ; 0x0
	.size	__hip_cuid_a4b3f01f865213cc, 1

	.ident	"AMD clang version 19.0.0git (https://github.com/RadeonOpenCompute/llvm-project roc-6.4.0 25133 c7fe45cf4b819c5991fe208aaa96edf142730f1d)"
	.section	".note.GNU-stack","",@progbits
	.addrsig
	.addrsig_sym __hip_cuid_a4b3f01f865213cc
	.amdgpu_metadata
---
amdhsa.kernels:
  - .args:
      - .actual_access:  read_only
        .address_space:  global
        .offset:         0
        .size:           8
        .value_kind:     global_buffer
      - .actual_access:  read_only
        .address_space:  global
        .offset:         8
        .size:           8
        .value_kind:     global_buffer
      - .actual_access:  read_only
        .address_space:  global
        .offset:         16
        .size:           8
        .value_kind:     global_buffer
      - .actual_access:  read_only
        .address_space:  global
        .offset:         24
        .size:           8
        .value_kind:     global_buffer
      - .actual_access:  read_only
        .address_space:  global
        .offset:         32
        .size:           8
        .value_kind:     global_buffer
      - .offset:         40
        .size:           8
        .value_kind:     by_value
      - .address_space:  global
        .offset:         48
        .size:           8
        .value_kind:     global_buffer
      - .address_space:  global
        .offset:         56
        .size:           8
        .value_kind:     global_buffer
      - .address_space:  global
        .offset:         64
        .size:           8
        .value_kind:     global_buffer
      - .address_space:  global
        .offset:         72
        .size:           8
        .value_kind:     global_buffer
      - .offset:         80
        .size:           4
        .value_kind:     by_value
      - .address_space:  global
        .offset:         88
        .size:           8
        .value_kind:     global_buffer
      - .address_space:  global
        .offset:         96
        .size:           8
        .value_kind:     global_buffer
    .group_segment_fixed_size: 28800
    .kernarg_segment_align: 8
    .kernarg_segment_size: 104
    .language:       OpenCL C
    .language_version:
      - 2
      - 0
    .max_flat_workgroup_size: 180
    .name:           bluestein_single_fwd_len900_dim1_dp_op_CI_CI
    .private_segment_fixed_size: 0
    .sgpr_count:     30
    .sgpr_spill_count: 0
    .symbol:         bluestein_single_fwd_len900_dim1_dp_op_CI_CI.kd
    .uniform_work_group_size: 1
    .uses_dynamic_stack: false
    .vgpr_count:     230
    .vgpr_spill_count: 0
    .wavefront_size: 64
amdhsa.target:   amdgcn-amd-amdhsa--gfx906
amdhsa.version:
  - 1
  - 2
...

	.end_amdgpu_metadata
